;; amdgpu-corpus repo=ROCm/rocFFT kind=compiled arch=gfx1100 opt=O3
	.text
	.amdgcn_target "amdgcn-amd-amdhsa--gfx1100"
	.amdhsa_code_object_version 6
	.protected	fft_rtc_back_len1188_factors_6_11_2_3_3_wgs_198_tpt_66_halfLds_half_ip_CI_unitstride_sbrr_C2R_dirReg ; -- Begin function fft_rtc_back_len1188_factors_6_11_2_3_3_wgs_198_tpt_66_halfLds_half_ip_CI_unitstride_sbrr_C2R_dirReg
	.globl	fft_rtc_back_len1188_factors_6_11_2_3_3_wgs_198_tpt_66_halfLds_half_ip_CI_unitstride_sbrr_C2R_dirReg
	.p2align	8
	.type	fft_rtc_back_len1188_factors_6_11_2_3_3_wgs_198_tpt_66_halfLds_half_ip_CI_unitstride_sbrr_C2R_dirReg,@function
fft_rtc_back_len1188_factors_6_11_2_3_3_wgs_198_tpt_66_halfLds_half_ip_CI_unitstride_sbrr_C2R_dirReg: ; @fft_rtc_back_len1188_factors_6_11_2_3_3_wgs_198_tpt_66_halfLds_half_ip_CI_unitstride_sbrr_C2R_dirReg
; %bb.0:
	s_load_b128 s[4:7], s[0:1], 0x0
	v_mul_u32_u24_e32 v1, 0x3e1, v0
	s_clause 0x1
	s_load_b64 s[8:9], s[0:1], 0x50
	s_load_b64 s[10:11], s[0:1], 0x18
	v_mov_b32_e32 v3, 0
	v_lshrrev_b32_e32 v4, 16, v1
	s_delay_alu instid0(VALU_DEP_1) | instskip(SKIP_3) | instid1(VALU_DEP_1)
	v_mad_u64_u32 v[1:2], null, s15, 3, v[4:5]
	v_mov_b32_e32 v5, 0
	v_mov_b32_e32 v6, 0
	;; [unrolled: 1-line block ×4, first 2 shown]
	s_waitcnt lgkmcnt(0)
	v_cmp_lt_u64_e64 s2, s[6:7], 2
	v_mov_b32_e32 v9, v1
	s_delay_alu instid0(VALU_DEP_2)
	s_and_b32 vcc_lo, exec_lo, s2
	s_cbranch_vccnz .LBB0_8
; %bb.1:
	s_load_b64 s[2:3], s[0:1], 0x10
	v_dual_mov_b32 v5, 0 :: v_dual_mov_b32 v8, v2
	s_add_u32 s12, s10, 8
	v_dual_mov_b32 v6, 0 :: v_dual_mov_b32 v7, v1
	s_addc_u32 s13, s11, 0
	s_mov_b64 s[16:17], 1
	s_waitcnt lgkmcnt(0)
	s_add_u32 s14, s2, 8
	s_addc_u32 s15, s3, 0
.LBB0_2:                                ; =>This Inner Loop Header: Depth=1
	s_load_b64 s[18:19], s[14:15], 0x0
                                        ; implicit-def: $vgpr9_vgpr10
	s_mov_b32 s2, exec_lo
	s_waitcnt lgkmcnt(0)
	v_or_b32_e32 v4, s19, v8
	s_delay_alu instid0(VALU_DEP_1)
	v_cmpx_ne_u64_e32 0, v[3:4]
	s_xor_b32 s3, exec_lo, s2
	s_cbranch_execz .LBB0_4
; %bb.3:                                ;   in Loop: Header=BB0_2 Depth=1
	v_cvt_f32_u32_e32 v2, s18
	v_cvt_f32_u32_e32 v4, s19
	s_sub_u32 s2, 0, s18
	s_subb_u32 s20, 0, s19
	s_delay_alu instid0(VALU_DEP_1) | instskip(NEXT) | instid1(VALU_DEP_1)
	v_fmac_f32_e32 v2, 0x4f800000, v4
	v_rcp_f32_e32 v2, v2
	s_waitcnt_depctr 0xfff
	v_mul_f32_e32 v2, 0x5f7ffffc, v2
	s_delay_alu instid0(VALU_DEP_1) | instskip(NEXT) | instid1(VALU_DEP_1)
	v_mul_f32_e32 v4, 0x2f800000, v2
	v_trunc_f32_e32 v4, v4
	s_delay_alu instid0(VALU_DEP_1) | instskip(SKIP_1) | instid1(VALU_DEP_2)
	v_fmac_f32_e32 v2, 0xcf800000, v4
	v_cvt_u32_f32_e32 v4, v4
	v_cvt_u32_f32_e32 v2, v2
	s_delay_alu instid0(VALU_DEP_2) | instskip(NEXT) | instid1(VALU_DEP_2)
	v_mul_lo_u32 v9, s2, v4
	v_mul_hi_u32 v10, s2, v2
	v_mul_lo_u32 v11, s20, v2
	s_delay_alu instid0(VALU_DEP_2) | instskip(SKIP_1) | instid1(VALU_DEP_2)
	v_add_nc_u32_e32 v9, v10, v9
	v_mul_lo_u32 v10, s2, v2
	v_add_nc_u32_e32 v9, v9, v11
	s_delay_alu instid0(VALU_DEP_2) | instskip(NEXT) | instid1(VALU_DEP_2)
	v_mul_hi_u32 v11, v2, v10
	v_mul_lo_u32 v12, v2, v9
	v_mul_hi_u32 v13, v2, v9
	v_mul_hi_u32 v14, v4, v10
	v_mul_lo_u32 v10, v4, v10
	v_mul_hi_u32 v15, v4, v9
	v_mul_lo_u32 v9, v4, v9
	v_add_co_u32 v11, vcc_lo, v11, v12
	v_add_co_ci_u32_e32 v12, vcc_lo, 0, v13, vcc_lo
	s_delay_alu instid0(VALU_DEP_2) | instskip(NEXT) | instid1(VALU_DEP_2)
	v_add_co_u32 v10, vcc_lo, v11, v10
	v_add_co_ci_u32_e32 v10, vcc_lo, v12, v14, vcc_lo
	v_add_co_ci_u32_e32 v11, vcc_lo, 0, v15, vcc_lo
	s_delay_alu instid0(VALU_DEP_2) | instskip(NEXT) | instid1(VALU_DEP_2)
	v_add_co_u32 v9, vcc_lo, v10, v9
	v_add_co_ci_u32_e32 v10, vcc_lo, 0, v11, vcc_lo
	s_delay_alu instid0(VALU_DEP_2) | instskip(NEXT) | instid1(VALU_DEP_2)
	v_add_co_u32 v2, vcc_lo, v2, v9
	v_add_co_ci_u32_e32 v4, vcc_lo, v4, v10, vcc_lo
	s_delay_alu instid0(VALU_DEP_2) | instskip(SKIP_1) | instid1(VALU_DEP_3)
	v_mul_hi_u32 v9, s2, v2
	v_mul_lo_u32 v11, s20, v2
	v_mul_lo_u32 v10, s2, v4
	s_delay_alu instid0(VALU_DEP_1) | instskip(SKIP_1) | instid1(VALU_DEP_2)
	v_add_nc_u32_e32 v9, v9, v10
	v_mul_lo_u32 v10, s2, v2
	v_add_nc_u32_e32 v9, v9, v11
	s_delay_alu instid0(VALU_DEP_2) | instskip(NEXT) | instid1(VALU_DEP_2)
	v_mul_hi_u32 v11, v2, v10
	v_mul_lo_u32 v12, v2, v9
	v_mul_hi_u32 v13, v2, v9
	v_mul_hi_u32 v14, v4, v10
	v_mul_lo_u32 v10, v4, v10
	v_mul_hi_u32 v15, v4, v9
	v_mul_lo_u32 v9, v4, v9
	v_add_co_u32 v11, vcc_lo, v11, v12
	v_add_co_ci_u32_e32 v12, vcc_lo, 0, v13, vcc_lo
	s_delay_alu instid0(VALU_DEP_2) | instskip(NEXT) | instid1(VALU_DEP_2)
	v_add_co_u32 v10, vcc_lo, v11, v10
	v_add_co_ci_u32_e32 v10, vcc_lo, v12, v14, vcc_lo
	v_add_co_ci_u32_e32 v11, vcc_lo, 0, v15, vcc_lo
	s_delay_alu instid0(VALU_DEP_2) | instskip(NEXT) | instid1(VALU_DEP_2)
	v_add_co_u32 v9, vcc_lo, v10, v9
	v_add_co_ci_u32_e32 v10, vcc_lo, 0, v11, vcc_lo
	s_delay_alu instid0(VALU_DEP_2) | instskip(NEXT) | instid1(VALU_DEP_2)
	v_add_co_u32 v2, vcc_lo, v2, v9
	v_add_co_ci_u32_e32 v4, vcc_lo, v4, v10, vcc_lo
	s_delay_alu instid0(VALU_DEP_2) | instskip(SKIP_1) | instid1(VALU_DEP_3)
	v_mul_hi_u32 v15, v7, v2
	v_mad_u64_u32 v[11:12], null, v8, v2, 0
	v_mad_u64_u32 v[9:10], null, v7, v4, 0
	;; [unrolled: 1-line block ×3, first 2 shown]
	s_delay_alu instid0(VALU_DEP_2) | instskip(NEXT) | instid1(VALU_DEP_3)
	v_add_co_u32 v2, vcc_lo, v15, v9
	v_add_co_ci_u32_e32 v4, vcc_lo, 0, v10, vcc_lo
	s_delay_alu instid0(VALU_DEP_2) | instskip(NEXT) | instid1(VALU_DEP_2)
	v_add_co_u32 v2, vcc_lo, v2, v11
	v_add_co_ci_u32_e32 v2, vcc_lo, v4, v12, vcc_lo
	v_add_co_ci_u32_e32 v4, vcc_lo, 0, v14, vcc_lo
	s_delay_alu instid0(VALU_DEP_2) | instskip(NEXT) | instid1(VALU_DEP_2)
	v_add_co_u32 v2, vcc_lo, v2, v13
	v_add_co_ci_u32_e32 v4, vcc_lo, 0, v4, vcc_lo
	s_delay_alu instid0(VALU_DEP_2) | instskip(SKIP_1) | instid1(VALU_DEP_3)
	v_mul_lo_u32 v11, s19, v2
	v_mad_u64_u32 v[9:10], null, s18, v2, 0
	v_mul_lo_u32 v12, s18, v4
	s_delay_alu instid0(VALU_DEP_2) | instskip(NEXT) | instid1(VALU_DEP_2)
	v_sub_co_u32 v9, vcc_lo, v7, v9
	v_add3_u32 v10, v10, v12, v11
	s_delay_alu instid0(VALU_DEP_1) | instskip(NEXT) | instid1(VALU_DEP_1)
	v_sub_nc_u32_e32 v11, v8, v10
	v_subrev_co_ci_u32_e64 v11, s2, s19, v11, vcc_lo
	v_add_co_u32 v12, s2, v2, 2
	s_delay_alu instid0(VALU_DEP_1) | instskip(SKIP_3) | instid1(VALU_DEP_3)
	v_add_co_ci_u32_e64 v13, s2, 0, v4, s2
	v_sub_co_u32 v14, s2, v9, s18
	v_sub_co_ci_u32_e32 v10, vcc_lo, v8, v10, vcc_lo
	v_subrev_co_ci_u32_e64 v11, s2, 0, v11, s2
	v_cmp_le_u32_e32 vcc_lo, s18, v14
	s_delay_alu instid0(VALU_DEP_3) | instskip(SKIP_1) | instid1(VALU_DEP_4)
	v_cmp_eq_u32_e64 s2, s19, v10
	v_cndmask_b32_e64 v14, 0, -1, vcc_lo
	v_cmp_le_u32_e32 vcc_lo, s19, v11
	v_cndmask_b32_e64 v15, 0, -1, vcc_lo
	v_cmp_le_u32_e32 vcc_lo, s18, v9
	;; [unrolled: 2-line block ×3, first 2 shown]
	v_cndmask_b32_e64 v16, 0, -1, vcc_lo
	v_cmp_eq_u32_e32 vcc_lo, s19, v11
	s_delay_alu instid0(VALU_DEP_2) | instskip(SKIP_3) | instid1(VALU_DEP_3)
	v_cndmask_b32_e64 v9, v16, v9, s2
	v_cndmask_b32_e32 v11, v15, v14, vcc_lo
	v_add_co_u32 v14, vcc_lo, v2, 1
	v_add_co_ci_u32_e32 v15, vcc_lo, 0, v4, vcc_lo
	v_cmp_ne_u32_e32 vcc_lo, 0, v11
	s_delay_alu instid0(VALU_DEP_2) | instskip(SKIP_1) | instid1(VALU_DEP_2)
	v_dual_cndmask_b32 v10, v15, v13 :: v_dual_cndmask_b32 v11, v14, v12
	v_cmp_ne_u32_e32 vcc_lo, 0, v9
	v_dual_cndmask_b32 v10, v4, v10 :: v_dual_cndmask_b32 v9, v2, v11
.LBB0_4:                                ;   in Loop: Header=BB0_2 Depth=1
	s_and_not1_saveexec_b32 s2, s3
	s_cbranch_execz .LBB0_6
; %bb.5:                                ;   in Loop: Header=BB0_2 Depth=1
	v_cvt_f32_u32_e32 v2, s18
	s_sub_i32 s3, 0, s18
	s_delay_alu instid0(VALU_DEP_1) | instskip(SKIP_2) | instid1(VALU_DEP_1)
	v_rcp_iflag_f32_e32 v2, v2
	s_waitcnt_depctr 0xfff
	v_mul_f32_e32 v2, 0x4f7ffffe, v2
	v_cvt_u32_f32_e32 v2, v2
	s_delay_alu instid0(VALU_DEP_1) | instskip(NEXT) | instid1(VALU_DEP_1)
	v_mul_lo_u32 v4, s3, v2
	v_mul_hi_u32 v4, v2, v4
	s_delay_alu instid0(VALU_DEP_1) | instskip(NEXT) | instid1(VALU_DEP_1)
	v_add_nc_u32_e32 v2, v2, v4
	v_mul_hi_u32 v2, v7, v2
	s_delay_alu instid0(VALU_DEP_1) | instskip(SKIP_1) | instid1(VALU_DEP_2)
	v_mul_lo_u32 v4, v2, s18
	v_add_nc_u32_e32 v9, 1, v2
	v_sub_nc_u32_e32 v4, v7, v4
	s_delay_alu instid0(VALU_DEP_1) | instskip(SKIP_1) | instid1(VALU_DEP_2)
	v_subrev_nc_u32_e32 v10, s18, v4
	v_cmp_le_u32_e32 vcc_lo, s18, v4
	v_cndmask_b32_e32 v4, v4, v10, vcc_lo
	v_mov_b32_e32 v10, v3
	v_cndmask_b32_e32 v2, v2, v9, vcc_lo
	s_delay_alu instid0(VALU_DEP_3) | instskip(NEXT) | instid1(VALU_DEP_2)
	v_cmp_le_u32_e32 vcc_lo, s18, v4
	v_add_nc_u32_e32 v9, 1, v2
	s_delay_alu instid0(VALU_DEP_1)
	v_cndmask_b32_e32 v9, v2, v9, vcc_lo
.LBB0_6:                                ;   in Loop: Header=BB0_2 Depth=1
	s_or_b32 exec_lo, exec_lo, s2
	s_load_b64 s[2:3], s[12:13], 0x0
	v_mul_lo_u32 v2, v10, s18
	s_delay_alu instid0(VALU_DEP_2)
	v_mul_lo_u32 v4, v9, s19
	v_mad_u64_u32 v[11:12], null, v9, s18, 0
	s_add_u32 s16, s16, 1
	s_addc_u32 s17, s17, 0
	s_add_u32 s12, s12, 8
	s_addc_u32 s13, s13, 0
	;; [unrolled: 2-line block ×3, first 2 shown]
	s_delay_alu instid0(VALU_DEP_1) | instskip(SKIP_1) | instid1(VALU_DEP_2)
	v_add3_u32 v2, v12, v4, v2
	v_sub_co_u32 v4, vcc_lo, v7, v11
	v_sub_co_ci_u32_e32 v2, vcc_lo, v8, v2, vcc_lo
	s_waitcnt lgkmcnt(0)
	s_delay_alu instid0(VALU_DEP_2) | instskip(NEXT) | instid1(VALU_DEP_2)
	v_mul_lo_u32 v11, s3, v4
	v_mul_lo_u32 v2, s2, v2
	v_mad_u64_u32 v[7:8], null, s2, v4, v[5:6]
	v_cmp_ge_u64_e64 s2, s[16:17], s[6:7]
	s_delay_alu instid0(VALU_DEP_1) | instskip(NEXT) | instid1(VALU_DEP_2)
	s_and_b32 vcc_lo, exec_lo, s2
	v_add3_u32 v6, v11, v8, v2
	s_delay_alu instid0(VALU_DEP_3)
	v_mov_b32_e32 v5, v7
	s_cbranch_vccnz .LBB0_8
; %bb.7:                                ;   in Loop: Header=BB0_2 Depth=1
	v_dual_mov_b32 v7, v9 :: v_dual_mov_b32 v8, v10
	s_branch .LBB0_2
.LBB0_8:
	s_lshl_b64 s[2:3], s[6:7], 3
	v_mul_hi_u32 v2, 0xaaaaaaab, v1
	s_add_u32 s2, s10, s2
	s_addc_u32 s3, s11, s3
	s_load_b64 s[0:1], s[0:1], 0x20
	s_load_b64 s[2:3], s[2:3], 0x0
	v_mul_hi_u32 v3, 0x3e0f83f, v0
	s_delay_alu instid0(VALU_DEP_2) | instskip(NEXT) | instid1(VALU_DEP_1)
	v_lshrrev_b32_e32 v2, 1, v2
	v_lshl_add_u32 v2, v2, 1, v2
	s_delay_alu instid0(VALU_DEP_1) | instskip(NEXT) | instid1(VALU_DEP_4)
	v_sub_nc_u32_e32 v1, v1, v2
	v_mul_u32_u24_e32 v2, 0x42, v3
	s_waitcnt lgkmcnt(0)
	v_cmp_gt_u64_e32 vcc_lo, s[0:1], v[9:10]
	v_mul_lo_u32 v4, s2, v10
	v_mul_lo_u32 v11, s3, v9
	v_mad_u64_u32 v[7:8], null, s2, v9, v[5:6]
	v_mul_u32_u24_e32 v3, 0x4a5, v1
	v_sub_nc_u32_e32 v0, v0, v2
	s_delay_alu instid0(VALU_DEP_2) | instskip(NEXT) | instid1(VALU_DEP_4)
	v_dual_mov_b32 v1, 0 :: v_dual_lshlrev_b32 v38, 2, v3
	v_add3_u32 v8, v11, v8, v4
	s_delay_alu instid0(VALU_DEP_1) | instskip(NEXT) | instid1(VALU_DEP_4)
	v_lshlrev_b64 v[10:11], 2, v[7:8]
	v_mov_b32_e32 v8, v0
	s_and_saveexec_b32 s1, vcc_lo
	s_cbranch_execz .LBB0_12
; %bb.9:
	v_lshlrev_b64 v[6:7], 2, v[0:1]
	s_delay_alu instid0(VALU_DEP_3) | instskip(NEXT) | instid1(VALU_DEP_1)
	v_add_co_u32 v4, s0, s8, v10
	v_add_co_ci_u32_e64 v5, s0, s9, v11, s0
	s_mov_b32 s2, exec_lo
	s_delay_alu instid0(VALU_DEP_2) | instskip(NEXT) | instid1(VALU_DEP_1)
	v_add_co_u32 v6, s0, v4, v6
	v_add_co_ci_u32_e64 v7, s0, v5, v7, s0
	s_clause 0x7
	global_load_b32 v2, v[6:7], off
	global_load_b32 v12, v[6:7], off offset:264
	global_load_b32 v13, v[6:7], off offset:528
	global_load_b32 v14, v[6:7], off offset:792
	global_load_b32 v15, v[6:7], off offset:1056
	global_load_b32 v16, v[6:7], off offset:1320
	global_load_b32 v17, v[6:7], off offset:1584
	global_load_b32 v18, v[6:7], off offset:1848
	v_add_co_u32 v8, s0, 0x1000, v6
	s_delay_alu instid0(VALU_DEP_1)
	v_add_co_ci_u32_e64 v9, s0, 0, v7, s0
	s_clause 0x9
	global_load_b32 v19, v[6:7], off offset:2112
	global_load_b32 v20, v[6:7], off offset:2376
	;; [unrolled: 1-line block ×10, first 2 shown]
	v_lshlrev_b32_e32 v6, 2, v0
	s_delay_alu instid0(VALU_DEP_1) | instskip(NEXT) | instid1(VALU_DEP_1)
	v_add3_u32 v6, 0, v38, v6
	v_add_nc_u32_e32 v9, 0x400, v6
	v_add_nc_u32_e32 v27, 0x800, v6
	;; [unrolled: 1-line block ×4, first 2 shown]
	s_waitcnt vmcnt(16)
	ds_store_2addr_b32 v6, v2, v12 offset1:66
	s_waitcnt vmcnt(14)
	ds_store_2addr_b32 v6, v13, v14 offset0:132 offset1:198
	s_waitcnt vmcnt(12)
	ds_store_2addr_b32 v9, v15, v16 offset0:8 offset1:74
	;; [unrolled: 2-line block ×4, first 2 shown]
	v_mov_b32_e32 v2, v1
	v_mov_b32_e32 v1, v0
	s_waitcnt vmcnt(6)
	ds_store_2addr_b32 v27, v21, v22 offset0:148 offset1:214
	s_waitcnt vmcnt(4)
	ds_store_2addr_b32 v28, v23, v24 offset0:24 offset1:90
	;; [unrolled: 2-line block ×4, first 2 shown]
	v_cmpx_eq_u32_e32 0x41, v0
	s_cbranch_execz .LBB0_11
; %bb.10:
	v_add_co_u32 v0, s0, 0x1000, v4
	s_delay_alu instid0(VALU_DEP_1)
	v_add_co_ci_u32_e64 v1, s0, 0, v5, s0
	global_load_b32 v4, v[0:1], off offset:656
	v_dual_mov_b32 v1, 0x41 :: v_dual_mov_b32 v0, 0x41
	v_mov_b32_e32 v2, 0
	s_waitcnt vmcnt(0)
	ds_store_b32 v6, v4 offset:4492
.LBB0_11:
	s_or_b32 exec_lo, exec_lo, s2
	v_mov_b32_e32 v8, v0
	v_mov_b32_e32 v0, v1
	;; [unrolled: 1-line block ×3, first 2 shown]
.LBB0_12:
	s_or_b32 exec_lo, exec_lo, s1
	v_lshl_add_u32 v36, v3, 2, 0
	v_lshlrev_b32_e32 v2, 2, v8
	s_waitcnt lgkmcnt(0)
	s_barrier
	buffer_gl0_inv
	v_lshlrev_b64 v[12:13], 2, v[0:1]
	v_add_nc_u32_e32 v37, v36, v2
	v_sub_nc_u32_e32 v2, v36, v2
	s_add_u32 s1, s4, 0x1278
	s_addc_u32 s2, s5, 0
	ds_load_u16 v3, v37
	ds_load_u16 v4, v2 offset:4752
	s_mov_b32 s3, exec_lo
	s_waitcnt lgkmcnt(0)
	v_add_f16_e32 v0, v4, v3
	v_sub_f16_e32 v1, v3, v4
	v_cmpx_ne_u32_e32 0, v8
	s_xor_b32 s3, exec_lo, s3
	s_cbranch_execz .LBB0_14
; %bb.13:
	v_add_co_u32 v0, s0, s1, v12
	s_delay_alu instid0(VALU_DEP_1)
	v_add_co_ci_u32_e64 v1, s0, s2, v13, s0
	v_add_f16_e32 v6, v4, v3
	v_sub_f16_e32 v3, v3, v4
	global_load_b32 v5, v[0:1], off
	ds_load_u16 v0, v2 offset:4754
	ds_load_u16 v1, v37 offset:2
	s_waitcnt lgkmcnt(0)
	v_add_f16_e32 v4, v0, v1
	v_sub_f16_e32 v0, v1, v0
	s_waitcnt vmcnt(0)
	v_lshrrev_b32_e32 v7, 16, v5
	s_delay_alu instid0(VALU_DEP_1) | instskip(NEXT) | instid1(VALU_DEP_3)
	v_fma_f16 v9, -v3, v7, v6
	v_fma_f16 v14, v4, v7, -v0
	v_fma_f16 v6, v3, v7, v6
	v_fma_f16 v1, v4, v7, v0
	s_delay_alu instid0(VALU_DEP_4) | instskip(NEXT) | instid1(VALU_DEP_4)
	v_fmac_f16_e32 v9, v5, v4
	v_fmac_f16_e32 v14, v3, v5
	s_delay_alu instid0(VALU_DEP_4) | instskip(NEXT) | instid1(VALU_DEP_4)
	v_fma_f16 v0, -v5, v4, v6
	v_fmac_f16_e32 v1, v3, v5
	s_delay_alu instid0(VALU_DEP_3)
	v_pack_b32_f16 v4, v9, v14
	ds_store_b32 v2, v4 offset:4752
.LBB0_14:
	s_and_not1_saveexec_b32 s0, s3
	s_cbranch_execz .LBB0_16
; %bb.15:
	ds_load_b32 v3, v36 offset:2376
	s_waitcnt lgkmcnt(0)
	v_pk_mul_f16 v3, 0xc0004000, v3
	ds_store_b32 v36, v3 offset:2376
.LBB0_16:
	s_or_b32 exec_lo, exec_lo, s0
	v_mov_b32_e32 v9, 0
	v_perm_b32 v0, v1, v0, 0x5040100
	s_delay_alu instid0(VALU_DEP_2) | instskip(NEXT) | instid1(VALU_DEP_1)
	v_lshlrev_b64 v[3:4], 2, v[8:9]
	v_add_co_u32 v3, s0, s1, v3
	s_delay_alu instid0(VALU_DEP_1)
	v_add_co_ci_u32_e64 v4, s0, s2, v4, s0
	v_cmp_gt_u32_e64 s0, 42, v8
	s_clause 0x5
	global_load_b32 v5, v[3:4], off offset:264
	global_load_b32 v6, v[3:4], off offset:528
	;; [unrolled: 1-line block ×6, first 2 shown]
	ds_store_b32 v37, v0
	global_load_b32 v0, v[3:4], off offset:1848
	ds_load_b32 v1, v37 offset:264
	ds_load_b32 v16, v2 offset:4488
	global_load_b32 v3, v[3:4], off offset:2112
	s_waitcnt lgkmcnt(1)
	v_lshrrev_b32_e32 v17, 16, v1
	s_waitcnt lgkmcnt(0)
	v_lshrrev_b32_e32 v18, 16, v16
	v_add_f16_e32 v4, v1, v16
	v_sub_f16_e32 v1, v1, v16
	s_delay_alu instid0(VALU_DEP_3) | instskip(SKIP_3) | instid1(VALU_DEP_1)
	v_add_f16_e32 v16, v18, v17
	v_sub_f16_e32 v17, v17, v18
	s_waitcnt vmcnt(7)
	v_lshrrev_b32_e32 v19, 16, v5
	v_fma_f16 v18, v1, v19, v4
	s_delay_alu instid0(VALU_DEP_3) | instskip(SKIP_2) | instid1(VALU_DEP_4)
	v_fma_f16 v20, v16, v19, v17
	v_fma_f16 v4, -v1, v19, v4
	v_fma_f16 v17, v16, v19, -v17
	v_fma_f16 v18, -v5, v16, v18
	s_delay_alu instid0(VALU_DEP_4) | instskip(NEXT) | instid1(VALU_DEP_4)
	v_fmac_f16_e32 v20, v1, v5
	v_fmac_f16_e32 v4, v5, v16
	s_delay_alu instid0(VALU_DEP_4) | instskip(NEXT) | instid1(VALU_DEP_3)
	v_fmac_f16_e32 v17, v1, v5
	v_pack_b32_f16 v1, v18, v20
	s_delay_alu instid0(VALU_DEP_2)
	v_pack_b32_f16 v4, v4, v17
	s_waitcnt vmcnt(6)
	v_lshrrev_b32_e32 v17, 16, v6
	ds_store_b32 v37, v1 offset:264
	ds_store_b32 v2, v4 offset:4488
	ds_load_b32 v1, v37 offset:528
	ds_load_b32 v4, v2 offset:4224
	s_waitcnt lgkmcnt(1)
	v_lshrrev_b32_e32 v5, 16, v1
	s_waitcnt lgkmcnt(0)
	v_lshrrev_b32_e32 v16, 16, v4
	v_add_f16_e32 v18, v1, v4
	v_sub_f16_e32 v1, v1, v4
	s_delay_alu instid0(VALU_DEP_3) | instskip(SKIP_1) | instid1(VALU_DEP_3)
	v_add_f16_e32 v4, v16, v5
	v_sub_f16_e32 v5, v5, v16
	v_fma_f16 v16, v1, v17, v18
	v_fma_f16 v18, -v1, v17, v18
	s_delay_alu instid0(VALU_DEP_3) | instskip(SKIP_1) | instid1(VALU_DEP_4)
	v_fma_f16 v19, v4, v17, v5
	v_fma_f16 v5, v4, v17, -v5
	v_fma_f16 v16, -v6, v4, v16
	s_delay_alu instid0(VALU_DEP_4) | instskip(NEXT) | instid1(VALU_DEP_4)
	v_fmac_f16_e32 v18, v6, v4
	v_fmac_f16_e32 v19, v1, v6
	s_delay_alu instid0(VALU_DEP_4) | instskip(NEXT) | instid1(VALU_DEP_2)
	v_fmac_f16_e32 v5, v1, v6
	v_pack_b32_f16 v1, v16, v19
	s_delay_alu instid0(VALU_DEP_2)
	v_pack_b32_f16 v4, v18, v5
	ds_store_b32 v37, v1 offset:528
	ds_store_b32 v2, v4 offset:4224
	ds_load_b32 v1, v37 offset:792
	ds_load_b32 v4, v2 offset:3960
	s_waitcnt vmcnt(5)
	v_lshrrev_b32_e32 v16, 16, v7
	s_waitcnt lgkmcnt(1)
	v_lshrrev_b32_e32 v5, 16, v1
	s_waitcnt lgkmcnt(0)
	v_lshrrev_b32_e32 v6, 16, v4
	v_add_f16_e32 v17, v1, v4
	v_sub_f16_e32 v1, v1, v4
	s_delay_alu instid0(VALU_DEP_3) | instskip(SKIP_1) | instid1(VALU_DEP_3)
	v_add_f16_e32 v4, v6, v5
	v_sub_f16_e32 v5, v5, v6
	v_fma_f16 v6, v1, v16, v17
	v_fma_f16 v17, -v1, v16, v17
	s_delay_alu instid0(VALU_DEP_3) | instskip(SKIP_1) | instid1(VALU_DEP_4)
	v_fma_f16 v18, v4, v16, v5
	v_fma_f16 v5, v4, v16, -v5
	v_fma_f16 v6, -v7, v4, v6
	s_delay_alu instid0(VALU_DEP_4) | instskip(NEXT) | instid1(VALU_DEP_4)
	v_fmac_f16_e32 v17, v7, v4
	v_fmac_f16_e32 v18, v1, v7
	s_delay_alu instid0(VALU_DEP_4) | instskip(SKIP_2) | instid1(VALU_DEP_3)
	v_fmac_f16_e32 v5, v1, v7
	s_waitcnt vmcnt(4)
	v_lshrrev_b32_e32 v7, 16, v9
	v_pack_b32_f16 v1, v6, v18
	s_delay_alu instid0(VALU_DEP_3)
	v_pack_b32_f16 v4, v17, v5
	ds_store_b32 v37, v1 offset:792
	ds_store_b32 v2, v4 offset:3960
	ds_load_b32 v1, v37 offset:1056
	ds_load_b32 v4, v2 offset:3696
	s_waitcnt lgkmcnt(1)
	v_lshrrev_b32_e32 v5, 16, v1
	s_waitcnt lgkmcnt(0)
	v_lshrrev_b32_e32 v6, 16, v4
	v_add_f16_e32 v16, v1, v4
	v_sub_f16_e32 v1, v1, v4
	s_delay_alu instid0(VALU_DEP_3) | instskip(SKIP_1) | instid1(VALU_DEP_3)
	v_add_f16_e32 v4, v6, v5
	v_sub_f16_e32 v5, v5, v6
	v_fma_f16 v6, v1, v7, v16
	v_fma_f16 v16, -v1, v7, v16
	s_delay_alu instid0(VALU_DEP_3) | instskip(SKIP_1) | instid1(VALU_DEP_4)
	v_fma_f16 v17, v4, v7, v5
	v_fma_f16 v5, v4, v7, -v5
	v_fma_f16 v6, -v9, v4, v6
	s_delay_alu instid0(VALU_DEP_4) | instskip(SKIP_4) | instid1(VALU_DEP_2)
	v_fmac_f16_e32 v16, v9, v4
	s_waitcnt vmcnt(3)
	v_lshrrev_b32_e32 v7, 16, v14
	v_fmac_f16_e32 v17, v1, v9
	v_fmac_f16_e32 v5, v1, v9
	v_pack_b32_f16 v1, v6, v17
	s_delay_alu instid0(VALU_DEP_2)
	v_pack_b32_f16 v4, v16, v5
	ds_store_b32 v37, v1 offset:1056
	ds_store_b32 v2, v4 offset:3696
	ds_load_b32 v1, v37 offset:1320
	ds_load_b32 v4, v2 offset:3432
	s_waitcnt lgkmcnt(1)
	v_lshrrev_b32_e32 v5, 16, v1
	s_waitcnt lgkmcnt(0)
	v_lshrrev_b32_e32 v6, 16, v4
	v_add_f16_e32 v9, v1, v4
	v_sub_f16_e32 v1, v1, v4
	s_delay_alu instid0(VALU_DEP_3) | instskip(SKIP_1) | instid1(VALU_DEP_3)
	v_add_f16_e32 v4, v6, v5
	v_sub_f16_e32 v5, v5, v6
	v_fma_f16 v6, v1, v7, v9
	v_fma_f16 v9, -v1, v7, v9
	s_delay_alu instid0(VALU_DEP_3) | instskip(SKIP_1) | instid1(VALU_DEP_4)
	v_fma_f16 v16, v4, v7, v5
	v_fma_f16 v5, v4, v7, -v5
	v_fma_f16 v6, -v14, v4, v6
	s_delay_alu instid0(VALU_DEP_4) | instskip(SKIP_4) | instid1(VALU_DEP_2)
	v_fmac_f16_e32 v9, v14, v4
	s_waitcnt vmcnt(2)
	v_lshrrev_b32_e32 v7, 16, v15
	v_fmac_f16_e32 v16, v1, v14
	v_fmac_f16_e32 v5, v1, v14
	v_pack_b32_f16 v1, v6, v16
	s_delay_alu instid0(VALU_DEP_2)
	;; [unrolled: 28-line block ×4, first 2 shown]
	v_pack_b32_f16 v1, v9, v5
	ds_store_b32 v37, v0 offset:1848
	ds_store_b32 v2, v1 offset:2904
	ds_load_b32 v0, v37 offset:2112
	ds_load_b32 v1, v2 offset:2640
	v_lshl_add_u32 v6, v8, 2, 0
	s_delay_alu instid0(VALU_DEP_1) | instskip(NEXT) | instid1(VALU_DEP_1)
	v_add_nc_u32_e32 v9, v6, v38
	v_add_nc_u32_e32 v28, 0x800, v9
	s_waitcnt lgkmcnt(1)
	v_lshrrev_b32_e32 v4, 16, v0
	s_waitcnt lgkmcnt(0)
	v_lshrrev_b32_e32 v5, 16, v1
	v_add_f16_e32 v14, v0, v1
	v_sub_f16_e32 v0, v0, v1
	s_delay_alu instid0(VALU_DEP_3) | instskip(SKIP_2) | instid1(VALU_DEP_4)
	v_add_f16_e32 v1, v5, v4
	v_sub_f16_e32 v4, v4, v5
	v_mul_u32_u24_e32 v5, 6, v8
	v_fma_f16 v6, v0, v7, v14
	v_fma_f16 v14, -v0, v7, v14
	s_delay_alu instid0(VALU_DEP_4) | instskip(NEXT) | instid1(VALU_DEP_4)
	v_fma_f16 v15, v1, v7, v4
	v_lshlrev_b32_e32 v24, 2, v5
	v_fma_f16 v7, v1, v7, -v4
	v_fma_f16 v5, -v3, v1, v6
	v_fmac_f16_e32 v14, v3, v1
	v_fmac_f16_e32 v15, v0, v3
	v_add_nc_u32_e32 v4, 0x400, v9
	v_fmac_f16_e32 v7, v0, v3
	v_add_nc_u32_e32 v3, 0x600, v9
	v_add_nc_u32_e32 v0, 0xa00, v9
	v_pack_b32_f16 v5, v5, v15
	v_add_nc_u32_e32 v1, 0xe00, v9
	v_pack_b32_f16 v6, v14, v7
	v_add_nc_u32_e32 v7, 0x200, v9
	ds_store_b32 v37, v5 offset:2112
	ds_store_b32 v2, v6 offset:2640
	s_waitcnt lgkmcnt(0)
	s_barrier
	buffer_gl0_inv
	s_barrier
	buffer_gl0_inv
	ds_load_2addr_b32 v[5:6], v9 offset0:66 offset1:132
	ds_load_2addr_b32 v[14:15], v4 offset0:74 offset1:140
	;; [unrolled: 1-line block ×4, first 2 shown]
	ds_load_b32 v2, v37
	ds_load_2addr_b32 v[20:21], v7 offset0:70 offset1:136
	ds_load_2addr_b32 v[22:23], v28 offset0:82 offset1:148
	v_add_nc_u32_e32 v7, 0xc00, v9
	v_add3_u32 v29, 0, v24, v38
	ds_load_2addr_b32 v[24:25], v1 offset0:94 offset1:160
	ds_load_b32 v30, v9 offset:4488
	ds_load_2addr_b32 v[26:27], v7 offset0:90 offset1:156
	s_waitcnt lgkmcnt(0)
	s_barrier
	v_add_nc_u32_e32 v32, 0x400, v29
	v_add_nc_u32_e32 v35, 0xc00, v29
	;; [unrolled: 1-line block ×6, first 2 shown]
	buffer_gl0_inv
	v_pk_add_f16 v45, v5, v16
	v_pk_add_f16 v43, v15, v19
	;; [unrolled: 1-line block ×3, first 2 shown]
	v_pk_add_f16 v44, v15, v19 neg_lo:[0,1] neg_hi:[0,1]
	v_pk_add_f16 v46, v21, v23
	v_pk_add_f16 v39, v6, v17
	;; [unrolled: 1-line block ×5, first 2 shown]
	v_pk_add_f16 v48, v16, v26 neg_lo:[0,1] neg_hi:[0,1]
	v_pk_add_f16 v16, v23, v25
	v_pk_add_f16 v49, v17, v27
	;; [unrolled: 1-line block ×3, first 2 shown]
	v_pk_add_f16 v22, v22, v24 neg_lo:[0,1] neg_hi:[0,1]
	v_pk_fma_f16 v20, v15, 0.5, v20 op_sel_hi:[1,0,1] neg_lo:[1,0,0] neg_hi:[1,0,0]
	v_pk_add_f16 v40, v14, v18
	v_pk_add_f16 v23, v23, v25 neg_lo:[0,1] neg_hi:[0,1]
	v_pk_fma_f16 v21, v16, 0.5, v21 op_sel_hi:[1,0,1] neg_lo:[1,0,0] neg_hi:[1,0,0]
	v_pk_add_f16 v17, v17, v27 neg_lo:[0,1] neg_hi:[0,1]
	v_pk_add_f16 v18, v18, v30 neg_lo:[0,1] neg_hi:[0,1]
	v_pk_add_f16 v26, v45, v26
	v_pk_add_f16 v25, v46, v25
	v_pk_fma_f16 v6, v49, 0.5, v6 op_sel_hi:[1,0,1] neg_lo:[1,0,0] neg_hi:[1,0,0]
	v_pk_fma_f16 v14, v50, 0.5, v14 op_sel_hi:[1,0,1] neg_lo:[1,0,0] neg_hi:[1,0,0]
	v_pk_add_f16 v27, v39, v27
	v_pk_fma_f16 v39, 0x3aee, v22, v20 op_sel:[0,0,1] op_sel_hi:[0,1,0]
	v_pk_fma_f16 v20, 0x3aee, v22, v20 op_sel:[0,0,1] op_sel_hi:[0,1,0] neg_lo:[0,1,0] neg_hi:[0,1,0]
	v_pk_add_f16 v30, v40, v30
	v_pk_fma_f16 v2, v43, 0.5, v2 op_sel_hi:[1,0,1] neg_lo:[1,0,0] neg_hi:[1,0,0]
	v_pk_fma_f16 v40, 0x3aee, v23, v21 op_sel:[0,0,1] op_sel_hi:[0,1,0]
	v_pk_fma_f16 v21, 0x3aee, v23, v21 op_sel:[0,0,1] op_sel_hi:[0,1,0] neg_lo:[0,1,0] neg_hi:[0,1,0]
	v_pk_add_f16 v19, v41, v19
	v_pk_add_f16 v24, v42, v24
	v_pk_fma_f16 v5, v47, 0.5, v5 op_sel_hi:[1,0,1] neg_lo:[1,0,0] neg_hi:[1,0,0]
	v_pk_add_f16 v22, v26, v25
	v_pk_add_f16 v23, v26, v25 neg_lo:[0,1] neg_hi:[0,1]
	v_pk_fma_f16 v25, 0x3aee, v17, v6 op_sel:[0,0,1] op_sel_hi:[0,1,0] neg_lo:[0,1,0] neg_hi:[0,1,0]
	v_pk_fma_f16 v6, 0x3aee, v17, v6 op_sel:[0,0,1] op_sel_hi:[0,1,0]
	v_pk_fma_f16 v17, 0x3aee, v18, v14 op_sel:[0,0,1] op_sel_hi:[0,1,0]
	v_pk_fma_f16 v14, 0x3aee, v18, v14 op_sel:[0,0,1] op_sel_hi:[0,1,0] neg_lo:[0,1,0] neg_hi:[0,1,0]
	v_lshrrev_b32_e32 v26, 16, v20
	v_mul_f16_e32 v41, 0x3aee, v39
	v_pk_mul_f16 v42, 0x3aee, v20 op_sel_hi:[0,1]
	v_pk_add_f16 v15, v27, v30
	v_pk_add_f16 v16, v27, v30 neg_lo:[0,1] neg_hi:[0,1]
	v_pk_fma_f16 v30, 0x3aee, v44, v2 op_sel:[0,0,1] op_sel_hi:[0,1,0] neg_lo:[0,1,0] neg_hi:[0,1,0]
	v_lshrrev_b32_e32 v43, 16, v39
	v_mul_f16_e32 v20, -0.5, v20
	v_pk_mul_f16 v49, 0x3aee, v21 op_sel_hi:[0,1]
	v_pk_add_f16 v27, v19, v24
	v_pk_add_f16 v19, v19, v24 neg_lo:[0,1] neg_hi:[0,1]
	v_pk_fma_f16 v24, 0x3aee, v48, v5 op_sel:[0,0,1] op_sel_hi:[0,1,0] neg_lo:[0,1,0] neg_hi:[0,1,0]
	v_pk_fma_f16 v5, 0x3aee, v48, v5 op_sel:[0,0,1] op_sel_hi:[0,1,0]
	v_lshrrev_b32_e32 v47, 16, v21
	v_mul_f16_e32 v48, 0x3aee, v40
	v_pk_mul_f16 v56, 0x3aee, v14 op_sel_hi:[0,1]
	v_lshrrev_b32_e32 v50, 16, v40
	v_mul_f16_e32 v21, -0.5, v21
	v_lshrrev_b32_e32 v54, 16, v14
	v_lshrrev_b32_e32 v57, 16, v17
	v_mul_f16_e32 v14, -0.5, v14
	v_fma_f16 v26, v26, 0.5, -v41
	v_pk_fma_f16 v41, 0xb8003800, v39, v42 op_sel:[0,0,1] op_sel_hi:[1,1,0]
	v_pk_fma_f16 v39, 0xb8003800, v39, v42 op_sel:[0,0,1] op_sel_hi:[1,1,0] neg_lo:[0,0,1] neg_hi:[0,0,1]
	v_lshrrev_b32_e32 v18, 16, v30
	v_fmac_f16_e32 v20, 0x3aee, v43
	v_pk_fma_f16 v43, 0xb8003800, v40, v49 op_sel:[0,0,1] op_sel_hi:[1,1,0]
	v_pk_fma_f16 v40, 0xb8003800, v40, v49 op_sel:[0,0,1] op_sel_hi:[1,1,0] neg_lo:[0,0,1] neg_hi:[0,0,1]
	v_pk_fma_f16 v2, 0x3aee, v44, v2 op_sel:[0,0,1] op_sel_hi:[0,1,0]
	v_lshrrev_b32_e32 v46, 16, v24
	v_mul_f16_e32 v55, 0x3aee, v17
	v_fma_f16 v42, v47, 0.5, -v48
	v_pk_fma_f16 v48, 0xb8003800, v17, v56 op_sel:[0,0,1] op_sel_hi:[1,1,0]
	v_pk_fma_f16 v17, 0xb8003800, v17, v56 op_sel:[0,0,1] op_sel_hi:[1,1,0] neg_lo:[0,0,1] neg_hi:[0,0,1]
	v_fmac_f16_e32 v21, 0x3aee, v50
	v_fmac_f16_e32 v14, 0x3aee, v57
	v_bfi_b32 v50, 0xffff, v41, v39
	v_add_f16_e32 v49, v18, v26
	v_pack_b32_f16 v26, v26, v41
	v_bfi_b32 v41, 0xffff, v43, v40
	v_alignbit_b32 v44, v2, v30, 16
	v_alignbit_b32 v45, v30, v2, 16
	v_lshrrev_b32_e32 v53, 16, v25
	v_fma_f16 v47, v54, 0.5, -v55
	v_add_f16_e32 v30, v30, v20
	v_alignbit_b32 v20, v20, v39, 16
	v_add_f16_e32 v39, v46, v42
	v_pack_b32_f16 v42, v42, v43
	v_bfi_b32 v43, 0xffff, v48, v17
	v_alignbit_b32 v51, v5, v24, 16
	v_alignbit_b32 v52, v24, v5, 16
	;; [unrolled: 1-line block ×3, first 2 shown]
	v_add_f16_e32 v24, v24, v21
	v_alignbit_b32 v21, v21, v40, 16
	v_alignbit_b32 v46, v14, v17, 16
	v_pk_add_f16 v2, v2, v50
	v_pk_add_f16 v5, v5, v41
	v_add_f16_e32 v18, v53, v47
	v_pk_add_f16 v41, v6, v43
	v_alignbit_b32 v58, v6, v25, 16
	v_add_f16_e32 v40, v25, v14
	v_pack_b32_f16 v25, v47, v48
	v_pk_add_f16 v26, v44, v26 neg_lo:[0,1] neg_hi:[0,1]
	v_pk_add_f16 v44, v45, v20 neg_lo:[0,1] neg_hi:[0,1]
	;; [unrolled: 1-line block ×4, first 2 shown]
	v_alignbit_b32 v6, v30, v2, 16
	v_pack_b32_f16 v2, v49, v2
	v_alignbit_b32 v21, v24, v5, 16
	v_pack_b32_f16 v5, v39, v5
	v_pk_add_f16 v42, v51, v42 neg_lo:[0,1] neg_hi:[0,1]
	v_pack_b32_f16 v24, v18, v41
	v_pk_add_f16 v17, v58, v25 neg_lo:[0,1] neg_hi:[0,1]
	ds_store_2addr_b32 v29, v27, v44 offset1:5
	ds_store_2addr_b32 v32, v22, v14 offset0:140 offset1:145
	v_alignbit_b32 v22, v40, v41, 16
	ds_store_2addr_b32 v35, v15, v20 offset0:24 offset1:29
	ds_store_2addr_b32 v29, v2, v6 offset0:1 offset1:2
	;; [unrolled: 1-line block ×3, first 2 shown]
	ds_store_2addr_b32 v7, v5, v21 offset1:1
	ds_store_2addr_b32 v31, v23, v42 offset1:1
	;; [unrolled: 1-line block ×4, first 2 shown]
	s_waitcnt lgkmcnt(0)
	s_barrier
	buffer_gl0_inv
	ds_load_b32 v50, v37
	ds_load_2addr_b32 v[32:33], v9 offset0:108 offset1:216
	ds_load_2addr_b32 v[30:31], v4 offset0:68 offset1:176
	;; [unrolled: 1-line block ×5, first 2 shown]
	v_lshrrev_b32_e32 v19, 16, v41
	v_lshrrev_b32_e32 v42, 16, v17
	;; [unrolled: 1-line block ×4, first 2 shown]
                                        ; implicit-def: $vgpr48
                                        ; implicit-def: $vgpr45
                                        ; implicit-def: $vgpr47
                                        ; implicit-def: $vgpr23
                                        ; implicit-def: $vgpr46
                                        ; implicit-def: $vgpr44
	s_and_saveexec_b32 s1, s0
	s_cbranch_execz .LBB0_18
; %bb.17:
	ds_load_2addr_b32 v[14:15], v9 offset0:66 offset1:174
	ds_load_2addr_b32 v[18:19], v4 offset0:26 offset1:134
	ds_load_2addr_b32 v[16:17], v3 offset0:114 offset1:222
	ds_load_2addr_b32 v[20:21], v0 offset0:74 offset1:182
	ds_load_2addr_b32 v[22:23], v1 offset0:34 offset1:142
	ds_load_b32 v45, v9 offset:4584
	s_waitcnt lgkmcnt(5)
	v_lshrrev_b32_e32 v39, 16, v14
	s_waitcnt lgkmcnt(4)
	v_lshrrev_b32_e32 v41, 16, v18
	v_lshrrev_b32_e32 v40, 16, v19
	s_waitcnt lgkmcnt(3)
	v_lshrrev_b32_e32 v42, 16, v17
	s_waitcnt lgkmcnt(2)
	v_lshrrev_b32_e32 v43, 16, v20
	v_lshrrev_b32_e32 v44, 16, v21
	s_waitcnt lgkmcnt(1)
	v_lshrrev_b32_e32 v46, 16, v22
	;; [unrolled: 3-line block ×3, first 2 shown]
.LBB0_18:
	s_or_b32 exec_lo, exec_lo, s1
	v_and_b32_e32 v0, 0xff, v8
	s_waitcnt lgkmcnt(4)
	v_lshrrev_b32_e32 v53, 16, v32
	s_waitcnt lgkmcnt(0)
	v_lshrrev_b32_e32 v51, 16, v24
	v_lshrrev_b32_e32 v52, 16, v25
	;; [unrolled: 1-line block ×3, first 2 shown]
	v_mul_lo_u16 v0, 0xab, v0
	v_lshrrev_b32_e32 v62, 16, v26
	v_lshrrev_b32_e32 v63, 16, v27
	;; [unrolled: 1-line block ×4, first 2 shown]
	v_lshrrev_b16 v49, 10, v0
	v_lshrrev_b32_e32 v58, 16, v28
	v_lshrrev_b32_e32 v59, 16, v29
	s_delay_alu instid0(VALU_DEP_3) | instskip(SKIP_1) | instid1(VALU_DEP_2)
	v_mul_lo_u16 v0, v49, 6
	v_and_b32_e32 v49, 0xffff, v49
	v_sub_nc_u16 v0, v8, v0
	s_delay_alu instid0(VALU_DEP_2) | instskip(SKIP_1) | instid1(VALU_DEP_3)
	v_mad_u32_u24 v60, 0x108, v49, 0
	v_add_nc_u32_e32 v49, 0x42, v8
	v_and_b32_e32 v54, 0xff, v0
	s_delay_alu instid0(VALU_DEP_1) | instskip(SKIP_2) | instid1(VALU_DEP_3)
	v_mul_u32_u24_e32 v0, 10, v54
	v_lshlrev_b32_e32 v61, 2, v54
	v_lshrrev_b32_e32 v54, 16, v50
	v_lshlrev_b32_e32 v34, 2, v0
	s_delay_alu instid0(VALU_DEP_3)
	v_add3_u32 v60, v60, v61, v38
	s_clause 0x2
	global_load_b128 v[0:3], v34, s[4:5]
	global_load_b128 v[4:7], v34, s[4:5] offset:16
	global_load_b64 v[34:35], v34, s[4:5] offset:32
	s_waitcnt vmcnt(0)
	s_barrier
	buffer_gl0_inv
	v_lshrrev_b32_e32 v61, 16, v0
	v_lshrrev_b32_e32 v64, 16, v1
	;; [unrolled: 1-line block ×6, first 2 shown]
	v_mul_f16_e32 v73, v61, v53
	v_mul_f16_e32 v61, v61, v32
	v_lshrrev_b32_e32 v65, 16, v2
	v_mul_f16_e32 v74, v64, v55
	v_mul_f16_e32 v64, v64, v33
	;; [unrolled: 1-line block ×7, first 2 shown]
	v_fmac_f16_e32 v73, v0, v32
	v_fma_f16 v0, v0, v53, -v61
	v_lshrrev_b32_e32 v66, 16, v3
	v_lshrrev_b32_e32 v67, 16, v4
	;; [unrolled: 1-line block ×3, first 2 shown]
	v_mul_f16_e32 v72, v25, v72
	v_mul_f16_e32 v75, v65, v56
	v_mul_f16_e32 v65, v65, v30
	v_mul_f16_e32 v69, v69, v26
	v_mul_f16_e32 v70, v70, v27
	v_fmac_f16_e32 v74, v1, v33
	v_fma_f16 v1, v1, v55, -v64
	v_fmac_f16_e32 v79, v6, v26
	v_fmac_f16_e32 v80, v7, v27
	;; [unrolled: 1-line block ×3, first 2 shown]
	v_fma_f16 v25, v51, v34, -v71
	v_add_f16_e32 v26, v73, v50
	v_add_f16_e32 v27, v0, v54
	v_mul_f16_e32 v76, v66, v57
	v_mul_f16_e32 v66, v66, v31
	v_mul_f16_e32 v77, v67, v58
	v_mul_f16_e32 v67, v67, v28
	v_mul_f16_e32 v78, v68, v59
	v_mul_f16_e32 v68, v68, v29
	v_fmac_f16_e32 v81, v24, v34
	v_fma_f16 v24, v52, v35, -v72
	v_fmac_f16_e32 v75, v2, v30
	v_fma_f16 v2, v2, v56, -v65
	v_add_f16_e32 v32, v1, v25
	v_sub_f16_e32 v34, v1, v25
	v_add_f16_e32 v26, v26, v74
	v_add_f16_e32 v1, v27, v1
	v_fmac_f16_e32 v76, v3, v31
	v_fma_f16 v3, v3, v57, -v66
	v_fmac_f16_e32 v77, v4, v28
	v_fma_f16 v4, v4, v58, -v67
	;; [unrolled: 2-line block ×3, first 2 shown]
	v_fma_f16 v6, v6, v62, -v69
	v_fma_f16 v7, v7, v63, -v70
	v_add_f16_e32 v29, v0, v24
	v_sub_f16_e32 v0, v0, v24
	v_add_f16_e32 v26, v26, v75
	v_add_f16_e32 v1, v1, v2
	;; [unrolled: 1-line block ×3, first 2 shown]
	v_sub_f16_e32 v30, v73, v82
	v_add_f16_e32 v51, v2, v7
	v_sub_f16_e32 v53, v2, v7
	v_sub_f16_e32 v56, v3, v6
	v_add_f16_e32 v57, v3, v6
	v_sub_f16_e32 v59, v4, v5
	v_add_f16_e32 v62, v4, v5
	v_mul_f16_e32 v27, 0xb853, v0
	v_mul_f16_e32 v64, 0x3abb, v29
	;; [unrolled: 1-line block ×10, first 2 shown]
	v_add_f16_e32 v26, v26, v76
	v_add_f16_e32 v1, v1, v3
	;; [unrolled: 1-line block ×3, first 2 shown]
	v_sub_f16_e32 v33, v74, v81
	v_add_f16_e32 v35, v75, v80
	v_sub_f16_e32 v52, v75, v80
	v_add_f16_e32 v55, v76, v79
	;; [unrolled: 2-line block ×3, first 2 shown]
	v_sub_f16_e32 v63, v77, v78
	v_mul_f16_e32 v71, 0xbb47, v34
	v_mul_f16_e32 v72, 0x36a6, v32
	;; [unrolled: 1-line block ×40, first 2 shown]
	v_fmamk_f16 v2, v28, 0x3abb, v27
	v_fmamk_f16 v75, v30, 0x3853, v64
	v_fma_f16 v27, v28, 0x3abb, -v27
	v_fmac_f16_e32 v64, 0xb853, v30
	v_fmamk_f16 v111, v28, 0x36a6, v65
	v_fmamk_f16 v112, v30, 0x3b47, v66
	v_fma_f16 v65, v28, 0x36a6, -v65
	v_fmac_f16_e32 v66, 0xbb47, v30
	v_fmamk_f16 v113, v28, 0xb08e, v67
	v_fmamk_f16 v114, v30, 0x3beb, v68
	v_fma_f16 v67, v28, 0xb08e, -v67
	v_fmamk_f16 v115, v28, 0xb93d, v69
	v_fma_f16 v69, v28, 0xb93d, -v69
	;; [unrolled: 2-line block ×3, first 2 shown]
	v_fmac_f16_e32 v68, 0xbbeb, v30
	v_fmamk_f16 v116, v30, 0x3a0c, v70
	v_fmac_f16_e32 v70, 0xba0c, v30
	v_fmamk_f16 v118, v30, 0x3482, v29
	v_fmac_f16_e32 v29, 0xb482, v30
	v_add_f16_e32 v26, v26, v77
	v_add_f16_e32 v1, v1, v4
	v_fmamk_f16 v28, v31, 0x36a6, v71
	v_fmamk_f16 v30, v33, 0x3b47, v72
	v_fma_f16 v71, v31, 0x36a6, -v71
	v_fmac_f16_e32 v72, 0xbb47, v33
	v_fmamk_f16 v119, v31, 0xb93d, v73
	v_fmamk_f16 v120, v33, 0x3a0c, v74
	v_fma_f16 v73, v31, 0xb93d, -v73
	v_fmac_f16_e32 v74, 0xba0c, v33
	;; [unrolled: 4-line block ×6, first 2 shown]
	v_fmamk_f16 v127, v35, 0xbbad, v89
	v_fma_f16 v128, 0xb482, v52, v90
	v_fma_f16 v89, v35, 0xbbad, -v89
	v_fmac_f16_e32 v90, 0x3482, v52
	v_fma_f16 v129, 0x36a6, v35, v91
	v_fma_f16 v130, 0xbb47, v52, v92
	v_fma_f16 v91, v35, 0x36a6, -v91
	v_fmac_f16_e32 v92, 0x3b47, v52
	v_fma_f16 v131, 0x3abb, v35, v93
	;; [unrolled: 4-line block ×3, first 2 shown]
	v_fma_f16 v134, 0x3a0c, v52, v51
	v_fma_f16 v35, v35, 0xb93d, -v53
	v_fmac_f16_e32 v51, 0xba0c, v52
	v_fmamk_f16 v52, v55, 0xb93d, v95
	v_fma_f16 v53, v55, 0xb93d, -v95
	v_fmamk_f16 v95, v55, 0xb08e, v96
	v_fma_f16 v96, v55, 0xb08e, -v96
	v_fma_f16 v135, 0x3abb, v55, v97
	v_fma_f16 v97, v55, 0x3abb, -v97
	v_fma_f16 v136, 0xbbad, v55, v98
	;; [unrolled: 2-line block ×3, first 2 shown]
	v_fma_f16 v55, v55, 0x36a6, -v56
	v_fmamk_f16 v56, v58, 0x3a0c, v99
	v_fmac_f16_e32 v99, 0xba0c, v58
	v_fma_f16 v138, 0xbbeb, v58, v100
	v_fmac_f16_e32 v100, 0x3beb, v58
	v_fma_f16 v139, 0x3853, v58, v101
	;; [unrolled: 2-line block ×4, first 2 shown]
	v_fmac_f16_e32 v57, 0x3b47, v58
	v_fmamk_f16 v58, v61, 0xbbad, v103
	v_fma_f16 v103, v61, 0xbbad, -v103
	v_fma_f16 v142, 0x3abb, v61, v104
	v_fma_f16 v104, v61, 0x3abb, -v104
	v_fma_f16 v143, 0xb93d, v61, v105
	;; [unrolled: 2-line block ×4, first 2 shown]
	v_fma_f16 v59, v61, 0xb08e, -v59
	v_fmamk_f16 v61, v63, 0x3482, v107
	v_fmac_f16_e32 v107, 0xb482, v63
	v_fma_f16 v146, 0xb853, v63, v108
	v_fmac_f16_e32 v108, 0x3853, v63
	v_fma_f16 v147, 0x3a0c, v63, v109
	;; [unrolled: 2-line block ×4, first 2 shown]
	v_fmac_f16_e32 v62, 0xbbeb, v63
	v_add_f16_e32 v2, v2, v50
	v_add_f16_e32 v3, v27, v50
	;; [unrolled: 1-line block ×48, first 2 shown]
	v_add_f16_e64 v28, v128, v30
	v_add_f16_e32 v30, v89, v50
	v_add_f16_e32 v31, v90, v54
	v_add_f16_e64 v32, v129, v63
	v_add_f16_e64 v33, v130, v64
	v_add_f16_e32 v3, v87, v3
	v_add_f16_e32 v34, v91, v65
	;; [unrolled: 1-line block ×3, first 2 shown]
	v_add_f16_e64 v54, v131, v67
	v_add_f16_e64 v63, v132, v68
	v_add_f16_e32 v64, v93, v69
	v_add_f16_e32 v65, v94, v70
	v_add_f16_e64 v66, v133, v71
	v_add_f16_e64 v67, v134, v72
	v_add_f16_e32 v0, v35, v0
	v_add_f16_e32 v29, v51, v29
	;; [unrolled: 1-line block ×7, first 2 shown]
	v_add_f16_e64 v27, v138, v28
	v_add_f16_e32 v28, v96, v30
	v_add_f16_e32 v30, v100, v31
	v_add_f16_e64 v31, v135, v32
	v_add_f16_e64 v32, v139, v33
	v_add_f16_e32 v3, v53, v3
	v_add_f16_e32 v33, v97, v34
	;; [unrolled: 1-line block ×3, first 2 shown]
	v_add_f16_e64 v35, v136, v54
	v_add_f16_e64 v50, v140, v63
	v_add_f16_e32 v51, v98, v64
	v_add_f16_e32 v52, v102, v65
	v_add_f16_e64 v53, v137, v66
	v_add_f16_e64 v54, v141, v67
	v_add_f16_e32 v0, v55, v0
	v_add_f16_e32 v29, v57, v29
	v_add_f16_e32 v26, v26, v81
	v_add_f16_e32 v1, v1, v25
	v_add_f16_e32 v5, v99, v5
	v_add_f16_e32 v2, v58, v2
	v_add_f16_e32 v4, v61, v4
	v_add_f16_e64 v6, v142, v6
	v_add_f16_e64 v7, v146, v27
	v_add_f16_e32 v27, v104, v28
	v_add_f16_e32 v28, v108, v30
	v_add_f16_e64 v30, v143, v31
	v_add_f16_e64 v31, v147, v32
	v_add_f16_e32 v32, v105, v33
	v_add_f16_e32 v33, v109, v34
	;; [unrolled: 4-line block ×4, first 2 shown]
	v_add_f16_e32 v26, v26, v82
	v_add_f16_e32 v1, v1, v24
	;; [unrolled: 1-line block ×4, first 2 shown]
	v_pack_b32_f16 v2, v2, v4
	v_pack_b32_f16 v4, v6, v7
	;; [unrolled: 1-line block ×11, first 2 shown]
	ds_store_2addr_b32 v60, v4, v6 offset0:12 offset1:18
	ds_store_2addr_b32 v60, v7, v25 offset0:24 offset1:30
	;; [unrolled: 1-line block ×4, first 2 shown]
	ds_store_2addr_b32 v60, v1, v2 offset1:6
	ds_store_b32 v60, v3 offset:240
	s_and_saveexec_b32 s1, s0
	s_cbranch_execz .LBB0_20
; %bb.19:
	v_and_b32_e32 v0, 0xff, v49
	v_lshrrev_b32_e32 v28, 16, v15
	v_lshrrev_b32_e32 v29, 16, v16
	s_delay_alu instid0(VALU_DEP_3) | instskip(NEXT) | instid1(VALU_DEP_1)
	v_mul_lo_u16 v0, 0xab, v0
	v_lshrrev_b16 v26, 10, v0
	s_delay_alu instid0(VALU_DEP_1) | instskip(SKIP_1) | instid1(VALU_DEP_2)
	v_mul_lo_u16 v0, v26, 6
	v_and_b32_e32 v26, 0xffff, v26
	v_sub_nc_u16 v0, v49, v0
	s_delay_alu instid0(VALU_DEP_2) | instskip(NEXT) | instid1(VALU_DEP_2)
	v_mad_u32_u24 v26, 0x108, v26, 0
	v_and_b32_e32 v27, 0xff, v0
	s_delay_alu instid0(VALU_DEP_1) | instskip(SKIP_1) | instid1(VALU_DEP_2)
	v_mul_u32_u24_e32 v0, 10, v27
	v_lshlrev_b32_e32 v27, 2, v27
	v_lshlrev_b32_e32 v24, 2, v0
	s_delay_alu instid0(VALU_DEP_2)
	v_add3_u32 v26, v26, v27, v38
	s_clause 0x2
	global_load_b128 v[0:3], v24, s[4:5]
	global_load_b128 v[4:7], v24, s[4:5] offset:16
	global_load_b64 v[24:25], v24, s[4:5] offset:32
	s_waitcnt vmcnt(2)
	v_lshrrev_b32_e32 v27, 16, v0
	v_lshrrev_b32_e32 v30, 16, v1
	s_waitcnt vmcnt(0)
	v_lshrrev_b32_e32 v35, 16, v25
	v_lshrrev_b32_e32 v31, 16, v2
	;; [unrolled: 1-line block ×8, first 2 shown]
	v_mul_f16_e32 v53, v28, v27
	v_mul_f16_e32 v54, v48, v35
	;; [unrolled: 1-line block ×20, first 2 shown]
	v_fmac_f16_e32 v53, v15, v0
	v_fmac_f16_e32 v54, v45, v25
	v_fma_f16 v15, v48, v25, -v35
	v_fma_f16 v0, v28, v0, -v27
	v_fmac_f16_e32 v55, v18, v1
	v_fmac_f16_e32 v56, v23, v24
	v_fma_f16 v18, v47, v24, -v52
	v_fma_f16 v1, v41, v1, -v30
	;; [unrolled: 4-line block ×5, first 2 shown]
	v_sub_f16_e32 v16, v53, v54
	v_add_f16_e32 v17, v0, v15
	v_sub_f16_e32 v29, v0, v15
	v_add_f16_e32 v42, v14, v53
	v_add_f16_e32 v0, v39, v0
	v_sub_f16_e32 v19, v55, v56
	v_add_f16_e32 v20, v1, v18
	v_sub_f16_e32 v21, v57, v58
	;; [unrolled: 2-line block ×4, first 2 shown]
	v_add_f16_e32 v27, v4, v5
	v_add_f16_e32 v28, v53, v54
	v_sub_f16_e32 v31, v1, v18
	v_sub_f16_e32 v33, v2, v7
	;; [unrolled: 1-line block ×4, first 2 shown]
	v_mul_f16_e32 v43, 0xb482, v16
	v_mul_f16_e32 v48, 0xb482, v29
	;; [unrolled: 1-line block ×8, first 2 shown]
	v_add_f16_e32 v42, v42, v55
	v_add_f16_e32 v0, v0, v1
	;; [unrolled: 1-line block ×6, first 2 shown]
	v_mul_f16_e32 v44, 0x3853, v19
	v_mul_f16_e32 v45, 0xba0c, v21
	;; [unrolled: 1-line block ×42, first 2 shown]
	v_fmamk_f16 v1, v17, 0xbbad, v43
	v_fma_f16 v101, v28, 0xbbad, -v48
	v_fma_f16 v17, v17, 0xbbad, -v43
	v_fmac_f16_e32 v48, 0xbbad, v28
	v_fmamk_f16 v43, v16, 0x3a0c, v63
	v_fmamk_f16 v106, v28, 0xb93d, v68
	v_fmamk_f16 v111, v16, 0x3beb, v73
	v_fmamk_f16 v116, v28, 0xb08e, v78
	v_fmamk_f16 v121, v16, 0x3b47, v83
	v_fma_f16 v131, 0x3853, v16, v93
	v_add_f16_e32 v42, v42, v57
	v_add_f16_e32 v0, v0, v2
	v_fmamk_f16 v55, v20, 0x3abb, v44
	v_fmamk_f16 v98, v22, 0xb93d, v45
	;; [unrolled: 1-line block ×4, first 2 shown]
	v_fma_f16 v102, v30, 0x3abb, -v50
	v_fma_f16 v103, v32, 0xb93d, -v51
	;; [unrolled: 1-line block ×8, first 2 shown]
	v_fmac_f16_e32 v50, 0x3abb, v30
	v_fmac_f16_e32 v51, 0xb93d, v32
	;; [unrolled: 1-line block ×4, first 2 shown]
	v_fmamk_f16 v44, v19, 0xbbeb, v64
	v_fmamk_f16 v45, v21, 0x3853, v65
	;; [unrolled: 1-line block ×22, first 2 shown]
	v_fma_f16 v128, 0xbbad, v32, v90
	v_fma_f16 v129, 0xb08e, v34, v91
	;; [unrolled: 1-line block ×12, first 2 shown]
	v_fmac_f16_e32 v63, 0xba0c, v16
	v_fmac_f16_e32 v64, 0x3beb, v19
	v_fmac_f16_e32 v65, 0xb853, v21
	v_fmac_f16_e32 v66, 0xb482, v23
	v_fmac_f16_e32 v67, 0x3b47, v25
	v_fma_f16 v2, v28, 0xb93d, -v68
	v_fma_f16 v57, v30, 0xb08e, -v69
	v_fma_f16 v68, v32, 0x3abb, -v70
	v_fma_f16 v69, v34, 0xbbad, -v71
	v_fma_f16 v70, v40, 0x36a6, -v72
	v_fmac_f16_e32 v73, 0xbbeb, v16
	v_fmac_f16_e32 v74, 0x3482, v19
	v_fmac_f16_e32 v75, 0x3b47, v21
	v_fmac_f16_e32 v76, 0xb853, v23
	v_fmac_f16_e32 v77, 0xba0c, v25
	v_fma_f16 v71, v28, 0xb08e, -v78
	v_fma_f16 v72, v30, 0xbbad, -v79
	v_fma_f16 v78, v32, 0x36a6, -v80
	v_fma_f16 v79, v34, 0x3abb, -v81
	v_fma_f16 v80, v40, 0xb93d, -v82
	;; [unrolled: 10-line block ×4, first 2 shown]
	v_add_f16_e32 v28, v14, v101
	v_add_f16_e32 v17, v39, v17
	;; [unrolled: 1-line block ×8, first 2 shown]
	v_add_f16_e64 v40, v39, v131
	v_add_f16_e32 v42, v42, v59
	v_add_f16_e32 v0, v0, v3
	;; [unrolled: 1-line block ×4, first 2 shown]
	v_add_f16_e64 v41, v14, v136
	v_add_f16_e32 v3, v39, v63
	v_add_f16_e32 v2, v14, v2
	;; [unrolled: 1-line block ×13, first 2 shown]
	v_add_f16_e64 v34, v132, v40
	v_add_f16_e32 v40, v42, v61
	v_add_f16_e32 v0, v0, v4
	;; [unrolled: 1-line block ×13, first 2 shown]
	v_add_f16_e64 v32, v133, v34
	v_add_f16_e32 v34, v40, v62
	v_add_f16_e32 v0, v0, v5
	;; [unrolled: 1-line block ×6, first 2 shown]
	v_add_f16_e64 v35, v137, v41
	v_add_f16_e32 v4, v74, v43
	v_add_f16_e32 v41, v72, v48
	;; [unrolled: 1-line block ×12, first 2 shown]
	v_add_f16_e64 v30, v134, v32
	v_add_f16_e32 v32, v34, v60
	v_add_f16_e32 v0, v0, v6
	;; [unrolled: 1-line block ×3, first 2 shown]
	v_add_f16_e64 v31, v128, v33
	v_add_f16_e32 v3, v65, v3
	v_add_f16_e32 v2, v68, v2
	v_add_f16_e64 v33, v138, v35
	v_add_f16_e32 v4, v75, v4
	v_add_f16_e32 v5, v78, v41
	;; [unrolled: 1-line block ×9, first 2 shown]
	v_add_f16_e64 v28, v135, v30
	v_add_f16_e32 v30, v32, v58
	v_add_f16_e32 v0, v0, v7
	;; [unrolled: 1-line block ×3, first 2 shown]
	v_add_f16_e64 v29, v129, v31
	v_add_f16_e32 v19, v52, v19
	v_add_f16_e32 v20, v46, v20
	;; [unrolled: 1-line block ×4, first 2 shown]
	v_add_f16_e64 v31, v139, v33
	v_add_f16_e32 v4, v76, v4
	v_add_f16_e32 v5, v79, v5
	;; [unrolled: 1-line block ×12, first 2 shown]
	v_add_f16_e64 v27, v130, v29
	v_add_f16_e32 v19, v53, v19
	v_add_f16_e32 v20, v47, v20
	;; [unrolled: 1-line block ×9, first 2 shown]
	v_add_f16_e64 v29, v140, v31
	v_pack_b32_f16 v1, v16, v1
	v_add_f16_e32 v16, v25, v54
	v_add_f16_e32 v0, v0, v15
	;; [unrolled: 1-line block ×3, first 2 shown]
	v_pack_b32_f16 v24, v27, v24
	v_pack_b32_f16 v22, v23, v22
	;; [unrolled: 1-line block ×10, first 2 shown]
	ds_store_2addr_b32 v26, v24, v22 offset0:12 offset1:18
	ds_store_2addr_b32 v26, v20, v17 offset0:24 offset1:30
	;; [unrolled: 1-line block ×4, first 2 shown]
	ds_store_2addr_b32 v26, v0, v18 offset1:6
	ds_store_b32 v26, v5 offset:240
.LBB0_20:
	s_or_b32 exec_lo, exec_lo, s1
	v_add_nc_u32_e32 v19, 0xc6, v8
	v_add_nc_u32_e32 v20, 0x84, v8
	;; [unrolled: 1-line block ×5, first 2 shown]
	v_and_b32_e32 v0, 0xffff, v19
	v_and_b32_e32 v1, 0xff, v20
	v_add_nc_u32_e32 v3, 0x1ce, v8
	v_add_nc_u32_e32 v4, 0x210, v8
	v_and_b32_e32 v7, 0xffff, v18
	v_mul_u32_u24_e32 v0, 0xf83f, v0
	v_mul_lo_u16 v5, 0xf9, v1
	v_and_b32_e32 v14, 0xffff, v3
	v_and_b32_e32 v15, 0xffff, v4
	v_mul_u32_u24_e32 v31, 0xf83f, v7
	v_lshrrev_b32_e32 v6, 22, v0
	v_add_co_u32 v0, s0, s4, v12
	v_and_b32_e32 v12, 0xffff, v17
	v_add_co_ci_u32_e64 v1, s0, s5, v13, s0
	s_delay_alu instid0(VALU_DEP_4) | instskip(SKIP_1) | instid1(VALU_DEP_4)
	v_mul_lo_u16 v6, 0x42, v6
	v_and_b32_e32 v13, 0xffff, v2
	v_mul_u32_u24_e32 v33, 0xf83f, v12
	v_mul_u32_u24_e32 v12, 0xf83f, v14
	v_lshrrev_b16 v5, 14, v5
	v_sub_nc_u16 v6, v19, v6
	v_mul_u32_u24_e32 v7, 0xf83f, v13
	v_lshrrev_b32_e32 v13, 22, v31
	v_lshrrev_b32_e32 v14, 22, v33
	;; [unrolled: 1-line block ×3, first 2 shown]
	v_and_b32_e32 v6, 0xffff, v6
	v_lshrrev_b32_e32 v7, 22, v7
	v_mul_lo_u16 v13, 0x42, v13
	v_mul_lo_u16 v14, 0x42, v14
	;; [unrolled: 1-line block ×3, first 2 shown]
	v_lshlrev_b32_e32 v35, 2, v6
	v_mul_u32_u24_e32 v6, 0xf83f, v15
	v_mul_lo_u16 v7, 0x42, v7
	v_sub_nc_u16 v13, v18, v13
	v_sub_nc_u16 v14, v17, v14
	;; [unrolled: 1-line block ×3, first 2 shown]
	v_lshrrev_b32_e32 v6, 22, v6
	v_sub_nc_u16 v2, v2, v7
	v_mul_lo_u16 v5, 0x42, v5
	v_and_b32_e32 v7, 0xffff, v14
	v_and_b32_e32 v3, 0xffff, v3
	v_mul_lo_u16 v6, 0x42, v6
	v_and_b32_e32 v2, 0xffff, v2
	s_waitcnt lgkmcnt(0)
	v_lshlrev_b32_e32 v42, 2, v7
	v_lshlrev_b32_e32 v44, 2, v3
	v_sub_nc_u16 v4, v4, v6
	v_and_b32_e32 v6, 0xffff, v13
	v_lshlrev_b32_e32 v43, 2, v2
	s_barrier
	buffer_gl0_inv
	v_and_b32_e32 v4, 0xffff, v4
	v_lshlrev_b32_e32 v41, 2, v6
	v_add_nc_u32_e32 v6, 0x800, v9
	v_add_nc_u32_e32 v16, 0xe00, v9
	;; [unrolled: 1-line block ×3, first 2 shown]
	v_lshlrev_b32_e32 v45, 2, v4
	s_clause 0x6
	global_load_b32 v46, v35, s[4:5] offset:240
	global_load_b32 v47, v41, s[4:5] offset:240
	;; [unrolled: 1-line block ×6, first 2 shown]
	global_load_b32 v53, v[0:1], off offset:240
	v_mov_b32_e32 v1, 0
	v_sub_nc_u16 v5, v20, v5
	v_lshlrev_b32_e32 v0, 1, v8
	v_add_nc_u32_e32 v15, 0x200, v9
	v_add_nc_u32_e32 v14, 0xa00, v9
	;; [unrolled: 1-line block ×3, first 2 shown]
	v_and_b32_e32 v5, 0xff, v5
	v_add_nc_u32_e32 v7, 0x600, v9
	ds_load_2addr_b32 v[21:22], v9 offset0:66 offset1:132
	v_lshrrev_b32_e32 v4, 23, v31
	v_lshlrev_b64 v[2:3], 2, v[0:1]
	v_lshlrev_b32_e32 v54, 2, v5
	v_lshlrev_b32_e32 v0, 1, v49
	v_lshrrev_b32_e32 v49, 23, v33
	v_mul_lo_u16 v58, 0x84, v4
	v_add3_u32 v35, 0, v35, v38
	global_load_b32 v55, v54, s[4:5] offset:240
	ds_load_b32 v56, v37
	ds_load_b32 v57, v9 offset:4488
	ds_load_2addr_b32 v[23:24], v6 offset0:82 offset1:148
	ds_load_2addr_b32 v[25:26], v15 offset0:70 offset1:136
	;; [unrolled: 1-line block ×7, first 2 shown]
	v_lshlrev_b64 v[4:5], 2, v[0:1]
	v_mul_lo_u16 v0, 0x84, v49
	v_sub_nc_u16 v49, v18, v58
	v_add3_u32 v54, 0, v54, v38
	v_add_co_u32 v2, s0, s4, v2
	s_delay_alu instid0(VALU_DEP_4) | instskip(NEXT) | instid1(VALU_DEP_4)
	v_sub_nc_u16 v0, v17, v0
	v_and_b32_e32 v49, 0xffff, v49
	v_add3_u32 v41, 0, v41, v38
	v_add_co_ci_u32_e64 v3, s0, s5, v3, s0
	s_delay_alu instid0(VALU_DEP_4)
	v_and_b32_e32 v58, 0xffff, v0
	v_add3_u32 v42, 0, v42, v38
	v_add3_u32 v43, 0, v43, v38
	v_add3_u32 v44, 0, v44, v38
	v_add3_u32 v45, 0, v45, v38
	v_add_co_u32 v4, s0, s4, v4
	v_add_nc_u32_e32 v54, 0x400, v54
	v_add_co_ci_u32_e64 v5, s0, s5, v5, s0
	v_add_nc_u32_e32 v35, 0x400, v35
	v_lshlrev_b32_e32 v0, 3, v49
	v_add_nc_u32_e32 v41, 0x800, v41
	s_waitcnt vmcnt(0) lgkmcnt(0)
	s_barrier
	buffer_gl0_inv
	v_add_nc_u32_e32 v42, 0x800, v42
	v_add_nc_u32_e32 v43, 0xc00, v43
	;; [unrolled: 1-line block ×4, first 2 shown]
	v_pk_mul_f16 v66, v40, v46 op_sel:[0,1]
	v_pk_mul_f16 v65, v33, v47 op_sel:[0,1]
	v_pk_mul_f16 v64, v34, v48 op_sel:[0,1]
	v_pk_mul_f16 v63, v31, v50 op_sel:[0,1]
	v_pk_mul_f16 v62, v32, v51 op_sel:[0,1]
	v_pk_mul_f16 v61, v57, v52 op_sel:[0,1]
	v_pk_mul_f16 v59, v53, v23 op_sel:[0,1]
	v_pk_mul_f16 v60, v53, v24 op_sel:[0,1]
	s_delay_alu instid0(VALU_DEP_2) | instskip(SKIP_1) | instid1(VALU_DEP_3)
	v_pk_fma_f16 v68, v53, v23, v59 op_sel:[0,0,1] op_sel_hi:[1,1,0]
	v_pk_fma_f16 v23, v53, v23, v59 op_sel:[0,0,1] op_sel_hi:[1,0,0] neg_lo:[1,0,0] neg_hi:[1,0,0]
	v_pk_fma_f16 v59, v53, v24, v60 op_sel:[0,0,1] op_sel_hi:[1,1,0]
	v_pk_fma_f16 v24, v53, v24, v60 op_sel:[0,0,1] op_sel_hi:[1,0,0] neg_lo:[1,0,0] neg_hi:[1,0,0]
	;; [unrolled: 2-line block ×6, first 2 shown]
	v_pk_mul_f16 v67, v39, v55 op_sel:[0,1]
	v_pk_fma_f16 v48, v33, v47, v65 op_sel:[0,0,1] op_sel_hi:[1,1,0]
	v_pk_fma_f16 v33, v33, v47, v65 op_sel:[0,0,1] op_sel_hi:[1,0,0] neg_lo:[0,0,1] neg_hi:[0,0,1]
	v_pk_fma_f16 v47, v40, v46, v66 op_sel:[0,0,1] op_sel_hi:[1,1,0]
	v_pk_fma_f16 v40, v40, v46, v66 op_sel:[0,0,1] op_sel_hi:[1,0,0] neg_lo:[0,0,1] neg_hi:[0,0,1]
	;; [unrolled: 2-line block ×3, first 2 shown]
	v_bfi_b32 v23, 0xffff, v68, v23
	v_bfi_b32 v24, 0xffff, v59, v24
	;; [unrolled: 1-line block ×9, first 2 shown]
	v_pk_add_f16 v23, v56, v23 neg_lo:[0,1] neg_hi:[0,1]
	v_pk_add_f16 v24, v21, v24 neg_lo:[0,1] neg_hi:[0,1]
	v_pk_add_f16 v39, v22, v39 neg_lo:[0,1] neg_hi:[0,1]
	v_pk_add_f16 v40, v25, v40 neg_lo:[0,1] neg_hi:[0,1]
	v_pk_add_f16 v34, v27, v34 neg_lo:[0,1] neg_hi:[0,1]
	v_pk_add_f16 v33, v26, v33 neg_lo:[0,1] neg_hi:[0,1]
	v_pk_add_f16 v46, v30, v52 neg_lo:[0,1] neg_hi:[0,1]
	v_pk_add_f16 v32, v29, v32 neg_lo:[0,1] neg_hi:[0,1]
	v_pk_add_f16 v31, v28, v31 neg_lo:[0,1] neg_hi:[0,1]
	v_pk_fma_f16 v47, v56, 2.0, v23 op_sel_hi:[1,0,1] neg_lo:[0,0,1] neg_hi:[0,0,1]
	v_pk_fma_f16 v21, v21, 2.0, v24 op_sel_hi:[1,0,1] neg_lo:[0,0,1] neg_hi:[0,0,1]
	;; [unrolled: 1-line block ×9, first 2 shown]
	ds_store_2addr_b32 v9, v47, v23 offset1:66
	ds_store_2addr_b32 v9, v21, v24 offset0:132 offset1:198
	ds_store_2addr_b32 v54, v22, v39 offset0:8 offset1:74
	ds_store_2addr_b32 v35, v25, v40 offset0:140 offset1:206
	ds_store_2addr_b32 v41, v26, v33 offset0:16 offset1:82
	ds_store_2addr_b32 v42, v27, v34 offset0:148 offset1:214
	ds_store_2addr_b32 v43, v28, v31 offset0:24 offset1:90
	ds_store_2addr_b32 v44, v29, v32 offset0:156 offset1:222
	ds_store_2addr_b32 v45, v30, v46 offset0:32 offset1:98
	s_waitcnt lgkmcnt(0)
	s_barrier
	buffer_gl0_inv
	global_load_b64 v[21:22], v[2:3], off offset:504
	v_lshlrev_b32_e32 v27, 3, v58
	s_clause 0x2
	global_load_b64 v[23:24], v[4:5], off offset:504
	global_load_b64 v[25:26], v0, s[4:5] offset:504
	global_load_b64 v[27:28], v27, s[4:5] offset:504
	v_lshlrev_b32_e32 v0, 1, v20
	v_lshlrev_b32_e32 v33, 2, v49
	;; [unrolled: 1-line block ×3, first 2 shown]
	s_delay_alu instid0(VALU_DEP_3) | instskip(SKIP_1) | instid1(VALU_DEP_3)
	v_lshlrev_b64 v[29:30], 2, v[0:1]
	v_lshlrev_b32_e32 v0, 1, v19
	v_add3_u32 v35, 0, v35, v38
	s_delay_alu instid0(VALU_DEP_2) | instskip(SKIP_2) | instid1(VALU_DEP_1)
	v_lshlrev_b64 v[19:20], 2, v[0:1]
	v_lshlrev_b32_e32 v0, 1, v18
	v_add_co_u32 v29, s0, s4, v29
	v_add_co_ci_u32_e64 v30, s0, s5, v30, s0
	s_delay_alu instid0(VALU_DEP_3) | instskip(SKIP_2) | instid1(VALU_DEP_1)
	v_lshlrev_b64 v[31:32], 2, v[0:1]
	v_lshlrev_b32_e32 v0, 1, v17
	v_add_co_u32 v17, s0, s4, v19
	v_add_co_ci_u32_e64 v18, s0, s5, v20, s0
	s_delay_alu instid0(VALU_DEP_3)
	v_lshlrev_b64 v[19:20], 2, v[0:1]
	v_add3_u32 v0, 0, v33, v38
	ds_load_b32 v52, v37
	ds_load_2addr_b32 v[33:34], v9 offset0:66 offset1:132
	ds_load_2addr_b32 v[38:39], v7 offset0:78 offset1:144
	;; [unrolled: 1-line block ×8, first 2 shown]
	ds_load_b32 v53, v9 offset:4488
	v_add_co_u32 v31, s0, s4, v31
	s_delay_alu instid0(VALU_DEP_1)
	v_add_co_ci_u32_e64 v32, s0, s5, v32, s0
	v_add_co_u32 v19, s0, s4, v19
	v_add_nc_u32_e32 v54, 0xc00, v0
	v_add_nc_u32_e32 v55, 0xc00, v35
	s_waitcnt vmcnt(0) lgkmcnt(0)
	s_barrier
	buffer_gl0_inv
	v_add_co_ci_u32_e64 v20, s0, s5, v20, s0
	v_lshrrev_b32_e32 v72, 16, v38
	v_lshrrev_b32_e32 v73, 16, v40
	;; [unrolled: 1-line block ×26, first 2 shown]
	v_mul_f16_e32 v82, v74, v70
	v_mul_f16_e32 v83, v74, v49
	;; [unrolled: 1-line block ×24, first 2 shown]
	v_fmac_f16_e32 v82, v21, v49
	v_fma_f16 v49, v21, v70, -v83
	v_fmac_f16_e32 v84, v22, v51
	v_fma_f16 v51, v22, v71, -v85
	;; [unrolled: 2-line block ×12, first 2 shown]
	v_add_f16_e32 v41, v82, v84
	v_add_f16_e32 v46, v49, v51
	v_add_f16_e32 v50, v86, v88
	v_sub_f16_e32 v53, v38, v40
	v_add_f16_e32 v59, v57, v38
	v_add_f16_e32 v38, v38, v40
	v_add_f16_e32 v63, v90, v91
	v_sub_f16_e32 v65, v21, v22
	;; [unrolled: 4-line block ×4, first 2 shown]
	v_add_f16_e32 v45, v56, v49
	v_sub_f16_e32 v47, v82, v84
	v_add_f16_e32 v49, v33, v86
	v_add_f16_e32 v69, v42, v92
	v_add_f16_e32 v74, v43, v94
	v_add_f16_e32 v75, v94, v95
	v_sub_f16_e32 v76, v25, v26
	v_add_f16_e32 v77, v64, v25
	v_add_f16_e32 v25, v25, v26
	;; [unrolled: 1-line block ×4, first 2 shown]
	v_sub_f16_e32 v81, v27, v28
	v_add_f16_e32 v82, v67, v27
	v_add_f16_e32 v27, v27, v28
	v_fmac_f16_e32 v52, -0.5, v41
	v_fmac_f16_e32 v56, -0.5, v46
	v_sub_f16_e32 v60, v86, v88
	v_fma_f16 v33, -0.5, v50, v33
	v_fmac_f16_e32 v57, -0.5, v38
	v_add_f16_e32 v62, v34, v90
	v_sub_f16_e32 v68, v90, v91
	v_fmac_f16_e32 v34, -0.5, v63
	v_fmac_f16_e32 v58, -0.5, v21
	v_sub_f16_e32 v73, v92, v93
	v_fma_f16 v42, -0.5, v70, v42
	v_fmac_f16_e32 v61, -0.5, v23
	v_sub_f16_e32 v78, v94, v95
	v_sub_f16_e32 v83, v96, v97
	v_add_f16_e32 v39, v39, v84
	v_add_f16_e32 v41, v45, v51
	;; [unrolled: 1-line block ×7, first 2 shown]
	v_fmac_f16_e32 v43, -0.5, v75
	v_add_f16_e32 v26, v77, v26
	v_fmac_f16_e32 v64, -0.5, v25
	v_add_f16_e32 v25, v79, v97
	v_fmac_f16_e32 v48, -0.5, v80
	v_add_f16_e32 v28, v82, v28
	v_fmac_f16_e32 v67, -0.5, v27
	v_fmamk_f16 v27, v44, 0xbaee, v52
	v_fmac_f16_e32 v52, 0x3aee, v44
	v_fmamk_f16 v44, v47, 0x3aee, v56
	v_fmac_f16_e32 v56, 0xbaee, v47
	;; [unrolled: 2-line block ×4, first 2 shown]
	v_add_f16_e32 v38, v62, v91
	v_add_f16_e32 v22, v66, v22
	v_fmamk_f16 v49, v65, 0xbaee, v34
	v_fmamk_f16 v50, v68, 0x3aee, v58
	;; [unrolled: 1-line block ×4, first 2 shown]
	v_fmac_f16_e32 v34, 0x3aee, v65
	v_fmac_f16_e32 v58, 0xbaee, v68
	v_fmac_f16_e32 v42, 0x3aee, v71
	v_fmac_f16_e32 v61, 0xbaee, v73
	v_fmamk_f16 v59, v76, 0xbaee, v43
	v_fmac_f16_e32 v43, 0x3aee, v76
	v_fmamk_f16 v60, v78, 0x3aee, v64
	v_fmac_f16_e32 v64, 0xbaee, v78
	;; [unrolled: 2-line block ×4, first 2 shown]
	v_pack_b32_f16 v39, v39, v41
	v_pack_b32_f16 v40, v45, v40
	v_pack_b32_f16 v21, v21, v24
	v_pack_b32_f16 v23, v23, v26
	v_pack_b32_f16 v24, v25, v28
	v_pack_b32_f16 v25, v27, v44
	v_pack_b32_f16 v26, v52, v56
	v_pack_b32_f16 v27, v46, v47
	v_pack_b32_f16 v28, v33, v57
	v_pack_b32_f16 v22, v38, v22
	v_pack_b32_f16 v33, v49, v50
	v_pack_b32_f16 v38, v51, v53
	v_pack_b32_f16 v34, v34, v58
	ds_store_2addr_b32 v9, v39, v40 offset1:66
	v_pack_b32_f16 v39, v42, v61
	v_pack_b32_f16 v40, v59, v60
	;; [unrolled: 1-line block ×5, first 2 shown]
	ds_store_2addr_b32 v15, v25, v26 offset0:4 offset1:136
	ds_store_2addr_b32 v15, v27, v28 offset0:70 offset1:202
	;; [unrolled: 1-line block ×4, first 2 shown]
	ds_store_b32 v9, v34 offset:2640
	ds_store_b32 v9, v39 offset:2904
	ds_store_2addr_b32 v54, v23, v40 offset0:24 offset1:156
	ds_store_b32 v0, v41 offset:4224
	ds_store_2addr_b32 v55, v24, v42 offset0:24 offset1:156
	ds_store_b32 v35, v43 offset:4224
	s_waitcnt lgkmcnt(0)
	s_barrier
	buffer_gl0_inv
	s_clause 0x5
	global_load_b64 v[2:3], v[2:3], off offset:1560
	global_load_b64 v[4:5], v[4:5], off offset:1560
	;; [unrolled: 1-line block ×6, first 2 shown]
	ds_load_b32 v0, v37
	ds_load_2addr_b32 v[25:26], v9 offset0:66 offset1:132
	ds_load_2addr_b32 v[27:28], v7 offset0:78 offset1:144
	;; [unrolled: 1-line block ×8, first 2 shown]
	ds_load_b32 v35, v9 offset:4488
	s_waitcnt vmcnt(0) lgkmcnt(0)
	s_barrier
	buffer_gl0_inv
	v_add_nc_u32_e32 v41, 0x1000, v9
	v_lshrrev_b32_e32 v42, 16, v0
	v_lshrrev_b32_e32 v43, 16, v25
	;; [unrolled: 1-line block ×30, first 2 shown]
	v_mul_f16_e32 v72, v60, v56
	v_mul_f16_e32 v60, v60, v38
	;; [unrolled: 1-line block ×24, first 2 shown]
	v_fmac_f16_e32 v72, v2, v38
	v_fma_f16 v2, v2, v56, -v60
	v_fmac_f16_e32 v73, v3, v40
	v_fma_f16 v3, v3, v57, -v61
	;; [unrolled: 2-line block ×12, first 2 shown]
	v_add_f16_e32 v24, v72, v73
	v_sub_f16_e32 v27, v2, v3
	v_add_f16_e32 v28, v42, v2
	v_add_f16_e32 v2, v2, v3
	;; [unrolled: 1-line block ×5, first 2 shown]
	v_sub_f16_e32 v34, v4, v5
	v_add_f16_e32 v35, v43, v4
	v_add_f16_e32 v4, v4, v5
	;; [unrolled: 1-line block ×3, first 2 shown]
	v_sub_f16_e32 v45, v21, v22
	v_add_f16_e32 v46, v44, v21
	v_add_f16_e32 v21, v21, v22
	;; [unrolled: 1-line block ×5, first 2 shown]
	v_sub_f16_e32 v52, v17, v15
	v_add_f16_e32 v54, v47, v17
	v_add_f16_e32 v17, v17, v15
	;; [unrolled: 1-line block ×3, first 2 shown]
	v_sub_f16_e32 v58, v18, v16
	v_add_f16_e32 v59, v50, v18
	v_add_f16_e32 v18, v18, v16
	v_sub_f16_e32 v29, v72, v73
	v_add_f16_e32 v56, v32, v80
	v_add_f16_e32 v61, v37, v82
	;; [unrolled: 1-line block ×3, first 2 shown]
	v_sub_f16_e32 v63, v19, v20
	v_add_f16_e32 v64, v53, v19
	v_add_f16_e32 v19, v19, v20
	v_fmac_f16_e32 v0, -0.5, v24
	v_fmac_f16_e32 v42, -0.5, v2
	v_sub_f16_e32 v38, v74, v75
	v_sub_f16_e32 v48, v76, v77
	v_add_f16_e32 v23, v23, v73
	v_add_f16_e32 v3, v28, v3
	;; [unrolled: 1-line block ×3, first 2 shown]
	v_fma_f16 v24, -0.5, v33, v25
	v_add_f16_e32 v5, v35, v5
	v_fmac_f16_e32 v43, -0.5, v4
	v_fmac_f16_e32 v26, -0.5, v40
	v_fmac_f16_e32 v44, -0.5, v21
	v_sub_f16_e32 v55, v78, v79
	v_add_f16_e32 v4, v39, v77
	v_add_f16_e32 v22, v46, v22
	;; [unrolled: 1-line block ×3, first 2 shown]
	v_fma_f16 v25, -0.5, v51, v31
	v_add_f16_e32 v15, v54, v15
	v_fmac_f16_e32 v47, -0.5, v17
	v_sub_f16_e32 v60, v80, v81
	v_fmac_f16_e32 v32, -0.5, v57
	v_fmac_f16_e32 v50, -0.5, v18
	v_sub_f16_e32 v65, v82, v83
	v_add_f16_e32 v17, v56, v81
	v_add_f16_e32 v16, v59, v16
	;; [unrolled: 1-line block ×3, first 2 shown]
	v_fmac_f16_e32 v37, -0.5, v62
	v_add_f16_e32 v20, v64, v20
	v_fmac_f16_e32 v53, -0.5, v19
	v_fmamk_f16 v19, v27, 0xbaee, v0
	v_fmac_f16_e32 v0, 0x3aee, v27
	v_fmamk_f16 v27, v29, 0x3aee, v42
	v_fmac_f16_e32 v42, 0xbaee, v29
	v_fmamk_f16 v28, v34, 0xbaee, v24
	v_fmamk_f16 v29, v38, 0x3aee, v43
	;; [unrolled: 1-line block ×4, first 2 shown]
	v_pack_b32_f16 v3, v23, v3
	v_pack_b32_f16 v2, v2, v5
	v_fmac_f16_e32 v24, 0x3aee, v34
	v_fmac_f16_e32 v26, 0x3aee, v45
	;; [unrolled: 1-line block ×3, first 2 shown]
	v_fmamk_f16 v33, v52, 0xbaee, v25
	v_fmac_f16_e32 v25, 0x3aee, v52
	v_fmamk_f16 v34, v55, 0x3aee, v47
	v_fmac_f16_e32 v47, 0xbaee, v55
	v_pack_b32_f16 v4, v4, v22
	v_pack_b32_f16 v5, v21, v15
	v_fmac_f16_e32 v43, 0xbaee, v38
	v_fmamk_f16 v35, v58, 0xbaee, v32
	v_fmamk_f16 v38, v60, 0x3aee, v50
	v_fmac_f16_e32 v32, 0x3aee, v58
	v_fmac_f16_e32 v50, 0xbaee, v60
	v_fmamk_f16 v39, v63, 0xbaee, v37
	v_fmac_f16_e32 v37, 0x3aee, v63
	v_fmamk_f16 v40, v65, 0x3aee, v53
	v_fmac_f16_e32 v53, 0xbaee, v65
	v_pack_b32_f16 v15, v17, v16
	v_pack_b32_f16 v16, v18, v20
	;; [unrolled: 1-line block ×4, first 2 shown]
	ds_store_2addr_b32 v9, v3, v2 offset1:66
	v_pack_b32_f16 v2, v28, v29
	v_pack_b32_f16 v18, v30, v31
	;; [unrolled: 1-line block ×3, first 2 shown]
	ds_store_2addr_b32 v9, v4, v5 offset0:132 offset1:198
	v_pack_b32_f16 v5, v25, v47
	v_pack_b32_f16 v4, v33, v34
	;; [unrolled: 1-line block ×5, first 2 shown]
	ds_store_2addr_b32 v12, v15, v16 offset0:8 offset1:74
	v_pack_b32_f16 v12, v39, v40
	v_pack_b32_f16 v15, v37, v53
	ds_store_b32 v9, v17 offset:1584
	ds_store_b32 v9, v0 offset:3168
	ds_store_2addr_b32 v7, v2, v18 offset0:78 offset1:144
	ds_store_2addr_b32 v13, v19, v5 offset0:156 offset1:222
	;; [unrolled: 1-line block ×5, first 2 shown]
	s_waitcnt lgkmcnt(0)
	s_barrier
	buffer_gl0_inv
	s_and_saveexec_b32 s0, vcc_lo
	s_cbranch_execz .LBB0_22
; %bb.21:
	v_dual_mov_b32 v9, v1 :: v_dual_add_nc_u32 v0, 0x42, v8
	v_add_co_u32 v31, vcc_lo, s8, v10
	v_lshl_add_u32 v29, v8, 2, v36
	s_delay_alu instid0(VALU_DEP_3) | instskip(NEXT) | instid1(VALU_DEP_4)
	v_lshlrev_b64 v[4:5], 2, v[8:9]
	v_lshlrev_b64 v[6:7], 2, v[0:1]
	v_add_nc_u32_e32 v0, 0x84, v8
	v_add_co_ci_u32_e32 v32, vcc_lo, s9, v11, vcc_lo
	v_add_nc_u32_e32 v23, 0x400, v29
	v_add_co_u32 v4, vcc_lo, v31, v4
	s_delay_alu instid0(VALU_DEP_4)
	v_lshlrev_b64 v[9:10], 2, v[0:1]
	v_add_nc_u32_e32 v0, 0xc6, v8
	v_add_co_ci_u32_e32 v5, vcc_lo, v32, v5, vcc_lo
	ds_load_2addr_b32 v[2:3], v29 offset1:66
	v_add_co_u32 v6, vcc_lo, v31, v6
	v_lshlrev_b64 v[13:14], 2, v[0:1]
	v_add_nc_u32_e32 v0, 0x108, v8
	v_add_co_ci_u32_e32 v7, vcc_lo, v32, v7, vcc_lo
	ds_load_2addr_b32 v[11:12], v29 offset0:132 offset1:198
	v_add_co_u32 v9, vcc_lo, v31, v9
	v_lshlrev_b64 v[15:16], 2, v[0:1]
	v_add_nc_u32_e32 v0, 0x14a, v8
	ds_load_2addr_b32 v[17:18], v23 offset0:8 offset1:74
	v_add_co_ci_u32_e32 v10, vcc_lo, v32, v10, vcc_lo
	v_add_co_u32 v13, vcc_lo, v31, v13
	v_lshlrev_b64 v[19:20], 2, v[0:1]
	v_add_nc_u32_e32 v0, 0x18c, v8
	ds_load_2addr_b32 v[23:24], v23 offset0:140 offset1:206
	v_add_co_ci_u32_e32 v14, vcc_lo, v32, v14, vcc_lo
	v_add_co_u32 v15, vcc_lo, v31, v15
	v_lshlrev_b64 v[21:22], 2, v[0:1]
	v_add_nc_u32_e32 v0, 0x1ce, v8
	v_add_co_ci_u32_e32 v16, vcc_lo, v32, v16, vcc_lo
	v_add_co_u32 v19, vcc_lo, v31, v19
	s_delay_alu instid0(VALU_DEP_3) | instskip(SKIP_3) | instid1(VALU_DEP_3)
	v_lshlrev_b64 v[25:26], 2, v[0:1]
	v_add_nc_u32_e32 v0, 0x210, v8
	v_add_co_ci_u32_e32 v20, vcc_lo, v32, v20, vcc_lo
	v_add_co_u32 v21, vcc_lo, v31, v21
	v_lshlrev_b64 v[27:28], 2, v[0:1]
	v_add_nc_u32_e32 v0, 0x252, v8
	v_add_co_ci_u32_e32 v22, vcc_lo, v32, v22, vcc_lo
	v_add_co_u32 v25, vcc_lo, v31, v25
	v_add_co_ci_u32_e32 v26, vcc_lo, v32, v26, vcc_lo
	s_waitcnt lgkmcnt(3)
	s_clause 0x1
	global_store_b32 v[4:5], v2, off
	global_store_b32 v[6:7], v3, off
	s_waitcnt lgkmcnt(2)
	s_clause 0x1
	global_store_b32 v[9:10], v11, off
	global_store_b32 v[13:14], v12, off
	;; [unrolled: 4-line block ×4, first 2 shown]
	v_lshlrev_b64 v[4:5], 2, v[0:1]
	v_add_nc_u32_e32 v0, 0x294, v8
	v_add_co_u32 v6, vcc_lo, v31, v27
	v_add_co_ci_u32_e32 v7, vcc_lo, v32, v28, vcc_lo
	s_delay_alu instid0(VALU_DEP_3) | instskip(SKIP_4) | instid1(VALU_DEP_4)
	v_lshlrev_b64 v[9:10], 2, v[0:1]
	v_add_nc_u32_e32 v0, 0x2d6, v8
	v_add_co_u32 v4, vcc_lo, v31, v4
	v_add_nc_u32_e32 v30, 0x800, v29
	v_add_co_ci_u32_e32 v5, vcc_lo, v32, v5, vcc_lo
	v_lshlrev_b64 v[13:14], 2, v[0:1]
	v_add_nc_u32_e32 v0, 0x318, v8
	v_add_co_u32 v9, vcc_lo, v31, v9
	v_add_co_ci_u32_e32 v10, vcc_lo, v32, v10, vcc_lo
	s_delay_alu instid0(VALU_DEP_3)
	v_lshlrev_b64 v[15:16], 2, v[0:1]
	v_add_nc_u32_e32 v0, 0x35a, v8
	v_add_nc_u32_e32 v23, 0xc00, v29
	ds_load_2addr_b32 v[2:3], v30 offset0:16 offset1:82
	v_add_co_u32 v13, vcc_lo, v31, v13
	v_lshlrev_b64 v[19:20], 2, v[0:1]
	v_add_nc_u32_e32 v0, 0x39c, v8
	ds_load_2addr_b32 v[11:12], v30 offset0:148 offset1:214
	v_add_co_ci_u32_e32 v14, vcc_lo, v32, v14, vcc_lo
	v_add_co_u32 v15, vcc_lo, v31, v15
	v_lshlrev_b64 v[21:22], 2, v[0:1]
	v_add_nc_u32_e32 v0, 0x3de, v8
	v_add_nc_u32_e32 v27, 0x1000, v29
	ds_load_2addr_b32 v[17:18], v23 offset0:24 offset1:90
	v_add_co_ci_u32_e32 v16, vcc_lo, v32, v16, vcc_lo
	v_lshlrev_b64 v[25:26], 2, v[0:1]
	v_add_nc_u32_e32 v0, 0x420, v8
	v_add_co_u32 v19, vcc_lo, v31, v19
	ds_load_2addr_b32 v[23:24], v23 offset0:156 offset1:222
	v_add_co_ci_u32_e32 v20, vcc_lo, v32, v20, vcc_lo
	v_lshlrev_b64 v[29:30], 2, v[0:1]
	v_add_nc_u32_e32 v0, 0x462, v8
	ds_load_2addr_b32 v[27:28], v27 offset0:32 offset1:98
	v_add_co_u32 v21, vcc_lo, v31, v21
	v_add_co_ci_u32_e32 v22, vcc_lo, v32, v22, vcc_lo
	v_add_co_u32 v25, vcc_lo, v31, v25
	v_lshlrev_b64 v[0:1], 2, v[0:1]
	v_add_co_ci_u32_e32 v26, vcc_lo, v32, v26, vcc_lo
	v_add_co_u32 v29, vcc_lo, v31, v29
	v_add_co_ci_u32_e32 v30, vcc_lo, v32, v30, vcc_lo
	s_delay_alu instid0(VALU_DEP_4)
	v_add_co_u32 v0, vcc_lo, v31, v0
	v_add_co_ci_u32_e32 v1, vcc_lo, v32, v1, vcc_lo
	s_waitcnt lgkmcnt(4)
	s_clause 0x1
	global_store_b32 v[6:7], v2, off
	global_store_b32 v[4:5], v3, off
	s_waitcnt lgkmcnt(3)
	s_clause 0x1
	global_store_b32 v[9:10], v11, off
	global_store_b32 v[13:14], v12, off
	;; [unrolled: 4-line block ×5, first 2 shown]
.LBB0_22:
	s_nop 0
	s_sendmsg sendmsg(MSG_DEALLOC_VGPRS)
	s_endpgm
	.section	.rodata,"a",@progbits
	.p2align	6, 0x0
	.amdhsa_kernel fft_rtc_back_len1188_factors_6_11_2_3_3_wgs_198_tpt_66_halfLds_half_ip_CI_unitstride_sbrr_C2R_dirReg
		.amdhsa_group_segment_fixed_size 0
		.amdhsa_private_segment_fixed_size 0
		.amdhsa_kernarg_size 88
		.amdhsa_user_sgpr_count 15
		.amdhsa_user_sgpr_dispatch_ptr 0
		.amdhsa_user_sgpr_queue_ptr 0
		.amdhsa_user_sgpr_kernarg_segment_ptr 1
		.amdhsa_user_sgpr_dispatch_id 0
		.amdhsa_user_sgpr_private_segment_size 0
		.amdhsa_wavefront_size32 1
		.amdhsa_uses_dynamic_stack 0
		.amdhsa_enable_private_segment 0
		.amdhsa_system_sgpr_workgroup_id_x 1
		.amdhsa_system_sgpr_workgroup_id_y 0
		.amdhsa_system_sgpr_workgroup_id_z 0
		.amdhsa_system_sgpr_workgroup_info 0
		.amdhsa_system_vgpr_workitem_id 0
		.amdhsa_next_free_vgpr 150
		.amdhsa_next_free_sgpr 21
		.amdhsa_reserve_vcc 1
		.amdhsa_float_round_mode_32 0
		.amdhsa_float_round_mode_16_64 0
		.amdhsa_float_denorm_mode_32 3
		.amdhsa_float_denorm_mode_16_64 3
		.amdhsa_dx10_clamp 1
		.amdhsa_ieee_mode 1
		.amdhsa_fp16_overflow 0
		.amdhsa_workgroup_processor_mode 1
		.amdhsa_memory_ordered 1
		.amdhsa_forward_progress 0
		.amdhsa_shared_vgpr_count 0
		.amdhsa_exception_fp_ieee_invalid_op 0
		.amdhsa_exception_fp_denorm_src 0
		.amdhsa_exception_fp_ieee_div_zero 0
		.amdhsa_exception_fp_ieee_overflow 0
		.amdhsa_exception_fp_ieee_underflow 0
		.amdhsa_exception_fp_ieee_inexact 0
		.amdhsa_exception_int_div_zero 0
	.end_amdhsa_kernel
	.text
.Lfunc_end0:
	.size	fft_rtc_back_len1188_factors_6_11_2_3_3_wgs_198_tpt_66_halfLds_half_ip_CI_unitstride_sbrr_C2R_dirReg, .Lfunc_end0-fft_rtc_back_len1188_factors_6_11_2_3_3_wgs_198_tpt_66_halfLds_half_ip_CI_unitstride_sbrr_C2R_dirReg
                                        ; -- End function
	.section	.AMDGPU.csdata,"",@progbits
; Kernel info:
; codeLenInByte = 15100
; NumSgprs: 23
; NumVgprs: 150
; ScratchSize: 0
; MemoryBound: 0
; FloatMode: 240
; IeeeMode: 1
; LDSByteSize: 0 bytes/workgroup (compile time only)
; SGPRBlocks: 2
; VGPRBlocks: 18
; NumSGPRsForWavesPerEU: 23
; NumVGPRsForWavesPerEU: 150
; Occupancy: 9
; WaveLimiterHint : 1
; COMPUTE_PGM_RSRC2:SCRATCH_EN: 0
; COMPUTE_PGM_RSRC2:USER_SGPR: 15
; COMPUTE_PGM_RSRC2:TRAP_HANDLER: 0
; COMPUTE_PGM_RSRC2:TGID_X_EN: 1
; COMPUTE_PGM_RSRC2:TGID_Y_EN: 0
; COMPUTE_PGM_RSRC2:TGID_Z_EN: 0
; COMPUTE_PGM_RSRC2:TIDIG_COMP_CNT: 0
	.text
	.p2alignl 7, 3214868480
	.fill 96, 4, 3214868480
	.type	__hip_cuid_4926b86b209832df,@object ; @__hip_cuid_4926b86b209832df
	.section	.bss,"aw",@nobits
	.globl	__hip_cuid_4926b86b209832df
__hip_cuid_4926b86b209832df:
	.byte	0                               ; 0x0
	.size	__hip_cuid_4926b86b209832df, 1

	.ident	"AMD clang version 19.0.0git (https://github.com/RadeonOpenCompute/llvm-project roc-6.4.0 25133 c7fe45cf4b819c5991fe208aaa96edf142730f1d)"
	.section	".note.GNU-stack","",@progbits
	.addrsig
	.addrsig_sym __hip_cuid_4926b86b209832df
	.amdgpu_metadata
---
amdhsa.kernels:
  - .args:
      - .actual_access:  read_only
        .address_space:  global
        .offset:         0
        .size:           8
        .value_kind:     global_buffer
      - .offset:         8
        .size:           8
        .value_kind:     by_value
      - .actual_access:  read_only
        .address_space:  global
        .offset:         16
        .size:           8
        .value_kind:     global_buffer
      - .actual_access:  read_only
        .address_space:  global
        .offset:         24
        .size:           8
        .value_kind:     global_buffer
      - .offset:         32
        .size:           8
        .value_kind:     by_value
      - .actual_access:  read_only
        .address_space:  global
        .offset:         40
        .size:           8
        .value_kind:     global_buffer
      - .actual_access:  read_only
        .address_space:  global
        .offset:         48
        .size:           8
        .value_kind:     global_buffer
      - .offset:         56
        .size:           4
        .value_kind:     by_value
      - .actual_access:  read_only
        .address_space:  global
        .offset:         64
        .size:           8
        .value_kind:     global_buffer
      - .actual_access:  read_only
        .address_space:  global
        .offset:         72
        .size:           8
        .value_kind:     global_buffer
      - .address_space:  global
        .offset:         80
        .size:           8
        .value_kind:     global_buffer
    .group_segment_fixed_size: 0
    .kernarg_segment_align: 8
    .kernarg_segment_size: 88
    .language:       OpenCL C
    .language_version:
      - 2
      - 0
    .max_flat_workgroup_size: 198
    .name:           fft_rtc_back_len1188_factors_6_11_2_3_3_wgs_198_tpt_66_halfLds_half_ip_CI_unitstride_sbrr_C2R_dirReg
    .private_segment_fixed_size: 0
    .sgpr_count:     23
    .sgpr_spill_count: 0
    .symbol:         fft_rtc_back_len1188_factors_6_11_2_3_3_wgs_198_tpt_66_halfLds_half_ip_CI_unitstride_sbrr_C2R_dirReg.kd
    .uniform_work_group_size: 1
    .uses_dynamic_stack: false
    .vgpr_count:     150
    .vgpr_spill_count: 0
    .wavefront_size: 32
    .workgroup_processor_mode: 1
amdhsa.target:   amdgcn-amd-amdhsa--gfx1100
amdhsa.version:
  - 1
  - 2
...

	.end_amdgpu_metadata
